;; amdgpu-corpus repo=ROCm/rocFFT kind=compiled arch=gfx1030 opt=O3
	.text
	.amdgcn_target "amdgcn-amd-amdhsa--gfx1030"
	.amdhsa_code_object_version 6
	.protected	fft_rtc_back_len1176_factors_2_2_2_3_7_7_wgs_56_tpt_56_halfLds_dp_op_CI_CI_unitstride_sbrr_R2C_dirReg ; -- Begin function fft_rtc_back_len1176_factors_2_2_2_3_7_7_wgs_56_tpt_56_halfLds_dp_op_CI_CI_unitstride_sbrr_R2C_dirReg
	.globl	fft_rtc_back_len1176_factors_2_2_2_3_7_7_wgs_56_tpt_56_halfLds_dp_op_CI_CI_unitstride_sbrr_R2C_dirReg
	.p2align	8
	.type	fft_rtc_back_len1176_factors_2_2_2_3_7_7_wgs_56_tpt_56_halfLds_dp_op_CI_CI_unitstride_sbrr_R2C_dirReg,@function
fft_rtc_back_len1176_factors_2_2_2_3_7_7_wgs_56_tpt_56_halfLds_dp_op_CI_CI_unitstride_sbrr_R2C_dirReg: ; @fft_rtc_back_len1176_factors_2_2_2_3_7_7_wgs_56_tpt_56_halfLds_dp_op_CI_CI_unitstride_sbrr_R2C_dirReg
; %bb.0:
	s_clause 0x2
	s_load_dwordx4 s[12:15], s[4:5], 0x0
	s_load_dwordx4 s[8:11], s[4:5], 0x58
	;; [unrolled: 1-line block ×3, first 2 shown]
	v_mul_u32_u24_e32 v1, 0x493, v0
	v_mov_b32_e32 v3, 0
	v_add_nc_u32_sdwa v5, s6, v1 dst_sel:DWORD dst_unused:UNUSED_PAD src0_sel:DWORD src1_sel:WORD_1
	v_mov_b32_e32 v1, 0
	v_mov_b32_e32 v6, v3
	v_mov_b32_e32 v2, 0
	s_waitcnt lgkmcnt(0)
	v_cmp_lt_u64_e64 s0, s[14:15], 2
	s_and_b32 vcc_lo, exec_lo, s0
	s_cbranch_vccnz .LBB0_8
; %bb.1:
	s_load_dwordx2 s[0:1], s[4:5], 0x10
	v_mov_b32_e32 v1, 0
	v_mov_b32_e32 v2, 0
	s_add_u32 s2, s18, 8
	s_addc_u32 s3, s19, 0
	s_add_u32 s6, s16, 8
	s_addc_u32 s7, s17, 0
	v_mov_b32_e32 v93, v2
	v_mov_b32_e32 v92, v1
	s_mov_b64 s[22:23], 1
	s_waitcnt lgkmcnt(0)
	s_add_u32 s20, s0, 8
	s_addc_u32 s21, s1, 0
.LBB0_2:                                ; =>This Inner Loop Header: Depth=1
	s_load_dwordx2 s[24:25], s[20:21], 0x0
                                        ; implicit-def: $vgpr96_vgpr97
	s_mov_b32 s0, exec_lo
	s_waitcnt lgkmcnt(0)
	v_or_b32_e32 v4, s25, v6
	v_cmpx_ne_u64_e32 0, v[3:4]
	s_xor_b32 s1, exec_lo, s0
	s_cbranch_execz .LBB0_4
; %bb.3:                                ;   in Loop: Header=BB0_2 Depth=1
	v_cvt_f32_u32_e32 v4, s24
	v_cvt_f32_u32_e32 v7, s25
	s_sub_u32 s0, 0, s24
	s_subb_u32 s26, 0, s25
	v_fmac_f32_e32 v4, 0x4f800000, v7
	v_rcp_f32_e32 v4, v4
	v_mul_f32_e32 v4, 0x5f7ffffc, v4
	v_mul_f32_e32 v7, 0x2f800000, v4
	v_trunc_f32_e32 v7, v7
	v_fmac_f32_e32 v4, 0xcf800000, v7
	v_cvt_u32_f32_e32 v7, v7
	v_cvt_u32_f32_e32 v4, v4
	v_mul_lo_u32 v8, s0, v7
	v_mul_hi_u32 v9, s0, v4
	v_mul_lo_u32 v10, s26, v4
	v_add_nc_u32_e32 v8, v9, v8
	v_mul_lo_u32 v9, s0, v4
	v_add_nc_u32_e32 v8, v8, v10
	v_mul_hi_u32 v10, v4, v9
	v_mul_lo_u32 v11, v4, v8
	v_mul_hi_u32 v12, v4, v8
	v_mul_hi_u32 v13, v7, v9
	v_mul_lo_u32 v9, v7, v9
	v_mul_hi_u32 v14, v7, v8
	v_mul_lo_u32 v8, v7, v8
	v_add_co_u32 v10, vcc_lo, v10, v11
	v_add_co_ci_u32_e32 v11, vcc_lo, 0, v12, vcc_lo
	v_add_co_u32 v9, vcc_lo, v10, v9
	v_add_co_ci_u32_e32 v9, vcc_lo, v11, v13, vcc_lo
	v_add_co_ci_u32_e32 v10, vcc_lo, 0, v14, vcc_lo
	v_add_co_u32 v8, vcc_lo, v9, v8
	v_add_co_ci_u32_e32 v9, vcc_lo, 0, v10, vcc_lo
	v_add_co_u32 v4, vcc_lo, v4, v8
	v_add_co_ci_u32_e32 v7, vcc_lo, v7, v9, vcc_lo
	v_mul_hi_u32 v8, s0, v4
	v_mul_lo_u32 v10, s26, v4
	v_mul_lo_u32 v9, s0, v7
	v_add_nc_u32_e32 v8, v8, v9
	v_mul_lo_u32 v9, s0, v4
	v_add_nc_u32_e32 v8, v8, v10
	v_mul_hi_u32 v10, v4, v9
	v_mul_lo_u32 v11, v4, v8
	v_mul_hi_u32 v12, v4, v8
	v_mul_hi_u32 v13, v7, v9
	v_mul_lo_u32 v9, v7, v9
	v_mul_hi_u32 v14, v7, v8
	v_mul_lo_u32 v8, v7, v8
	v_add_co_u32 v10, vcc_lo, v10, v11
	v_add_co_ci_u32_e32 v11, vcc_lo, 0, v12, vcc_lo
	v_add_co_u32 v9, vcc_lo, v10, v9
	v_add_co_ci_u32_e32 v9, vcc_lo, v11, v13, vcc_lo
	v_add_co_ci_u32_e32 v10, vcc_lo, 0, v14, vcc_lo
	v_add_co_u32 v8, vcc_lo, v9, v8
	v_add_co_ci_u32_e32 v9, vcc_lo, 0, v10, vcc_lo
	v_add_co_u32 v4, vcc_lo, v4, v8
	v_add_co_ci_u32_e32 v11, vcc_lo, v7, v9, vcc_lo
	v_mul_hi_u32 v13, v5, v4
	v_mad_u64_u32 v[9:10], null, v6, v4, 0
	v_mad_u64_u32 v[7:8], null, v5, v11, 0
	;; [unrolled: 1-line block ×3, first 2 shown]
	v_add_co_u32 v4, vcc_lo, v13, v7
	v_add_co_ci_u32_e32 v7, vcc_lo, 0, v8, vcc_lo
	v_add_co_u32 v4, vcc_lo, v4, v9
	v_add_co_ci_u32_e32 v4, vcc_lo, v7, v10, vcc_lo
	v_add_co_ci_u32_e32 v7, vcc_lo, 0, v12, vcc_lo
	v_add_co_u32 v4, vcc_lo, v4, v11
	v_add_co_ci_u32_e32 v9, vcc_lo, 0, v7, vcc_lo
	v_mul_lo_u32 v10, s25, v4
	v_mad_u64_u32 v[7:8], null, s24, v4, 0
	v_mul_lo_u32 v11, s24, v9
	v_sub_co_u32 v7, vcc_lo, v5, v7
	v_add3_u32 v8, v8, v11, v10
	v_sub_nc_u32_e32 v10, v6, v8
	v_subrev_co_ci_u32_e64 v10, s0, s25, v10, vcc_lo
	v_add_co_u32 v11, s0, v4, 2
	v_add_co_ci_u32_e64 v12, s0, 0, v9, s0
	v_sub_co_u32 v13, s0, v7, s24
	v_sub_co_ci_u32_e32 v8, vcc_lo, v6, v8, vcc_lo
	v_subrev_co_ci_u32_e64 v10, s0, 0, v10, s0
	v_cmp_le_u32_e32 vcc_lo, s24, v13
	v_cmp_eq_u32_e64 s0, s25, v8
	v_cndmask_b32_e64 v13, 0, -1, vcc_lo
	v_cmp_le_u32_e32 vcc_lo, s25, v10
	v_cndmask_b32_e64 v14, 0, -1, vcc_lo
	v_cmp_le_u32_e32 vcc_lo, s24, v7
	;; [unrolled: 2-line block ×3, first 2 shown]
	v_cndmask_b32_e64 v15, 0, -1, vcc_lo
	v_cmp_eq_u32_e32 vcc_lo, s25, v10
	v_cndmask_b32_e64 v7, v15, v7, s0
	v_cndmask_b32_e32 v10, v14, v13, vcc_lo
	v_add_co_u32 v13, vcc_lo, v4, 1
	v_add_co_ci_u32_e32 v14, vcc_lo, 0, v9, vcc_lo
	v_cmp_ne_u32_e32 vcc_lo, 0, v10
	v_cndmask_b32_e32 v8, v14, v12, vcc_lo
	v_cndmask_b32_e32 v10, v13, v11, vcc_lo
	v_cmp_ne_u32_e32 vcc_lo, 0, v7
	v_cndmask_b32_e32 v97, v9, v8, vcc_lo
	v_cndmask_b32_e32 v96, v4, v10, vcc_lo
.LBB0_4:                                ;   in Loop: Header=BB0_2 Depth=1
	s_andn2_saveexec_b32 s0, s1
	s_cbranch_execz .LBB0_6
; %bb.5:                                ;   in Loop: Header=BB0_2 Depth=1
	v_cvt_f32_u32_e32 v4, s24
	s_sub_i32 s1, 0, s24
	v_mov_b32_e32 v97, v3
	v_rcp_iflag_f32_e32 v4, v4
	v_mul_f32_e32 v4, 0x4f7ffffe, v4
	v_cvt_u32_f32_e32 v4, v4
	v_mul_lo_u32 v7, s1, v4
	v_mul_hi_u32 v7, v4, v7
	v_add_nc_u32_e32 v4, v4, v7
	v_mul_hi_u32 v4, v5, v4
	v_mul_lo_u32 v7, v4, s24
	v_add_nc_u32_e32 v8, 1, v4
	v_sub_nc_u32_e32 v7, v5, v7
	v_subrev_nc_u32_e32 v9, s24, v7
	v_cmp_le_u32_e32 vcc_lo, s24, v7
	v_cndmask_b32_e32 v7, v7, v9, vcc_lo
	v_cndmask_b32_e32 v4, v4, v8, vcc_lo
	v_cmp_le_u32_e32 vcc_lo, s24, v7
	v_add_nc_u32_e32 v8, 1, v4
	v_cndmask_b32_e32 v96, v4, v8, vcc_lo
.LBB0_6:                                ;   in Loop: Header=BB0_2 Depth=1
	s_or_b32 exec_lo, exec_lo, s0
	v_mul_lo_u32 v4, v97, s24
	v_mul_lo_u32 v9, v96, s25
	s_load_dwordx2 s[0:1], s[6:7], 0x0
	v_mad_u64_u32 v[7:8], null, v96, s24, 0
	s_load_dwordx2 s[24:25], s[2:3], 0x0
	s_add_u32 s22, s22, 1
	s_addc_u32 s23, s23, 0
	s_add_u32 s2, s2, 8
	s_addc_u32 s3, s3, 0
	s_add_u32 s6, s6, 8
	v_add3_u32 v4, v8, v9, v4
	v_sub_co_u32 v5, vcc_lo, v5, v7
	s_addc_u32 s7, s7, 0
	s_add_u32 s20, s20, 8
	v_sub_co_ci_u32_e32 v4, vcc_lo, v6, v4, vcc_lo
	s_addc_u32 s21, s21, 0
	s_waitcnt lgkmcnt(0)
	v_mul_lo_u32 v6, s0, v4
	v_mul_lo_u32 v7, s1, v5
	v_mad_u64_u32 v[1:2], null, s0, v5, v[1:2]
	v_mul_lo_u32 v4, s24, v4
	v_mul_lo_u32 v8, s25, v5
	v_mad_u64_u32 v[92:93], null, s24, v5, v[92:93]
	v_cmp_ge_u64_e64 s0, s[22:23], s[14:15]
	v_add3_u32 v2, v7, v2, v6
	v_add3_u32 v93, v8, v93, v4
	s_and_b32 vcc_lo, exec_lo, s0
	s_cbranch_vccnz .LBB0_9
; %bb.7:                                ;   in Loop: Header=BB0_2 Depth=1
	v_mov_b32_e32 v5, v96
	v_mov_b32_e32 v6, v97
	s_branch .LBB0_2
.LBB0_8:
	v_mov_b32_e32 v93, v2
	v_mov_b32_e32 v97, v6
	;; [unrolled: 1-line block ×4, first 2 shown]
.LBB0_9:
	s_load_dwordx2 s[0:1], s[4:5], 0x28
	v_mul_hi_u32 v3, 0x4924925, v0
	s_lshl_b64 s[4:5], s[14:15], 3
                                        ; implicit-def: $vgpr94
                                        ; implicit-def: $vgpr98
                                        ; implicit-def: $vgpr109
                                        ; implicit-def: $vgpr108
                                        ; implicit-def: $vgpr107
                                        ; implicit-def: $vgpr106
                                        ; implicit-def: $vgpr105
                                        ; implicit-def: $vgpr104
                                        ; implicit-def: $vgpr101
                                        ; implicit-def: $vgpr103
                                        ; implicit-def: $vgpr100
	s_add_u32 s2, s18, s4
	s_addc_u32 s3, s19, s5
	s_waitcnt lgkmcnt(0)
	v_cmp_gt_u64_e32 vcc_lo, s[0:1], v[96:97]
	v_cmp_le_u64_e64 s0, s[0:1], v[96:97]
	s_and_saveexec_b32 s1, s0
	s_xor_b32 s0, exec_lo, s1
	s_cbranch_execz .LBB0_11
; %bb.10:
	v_mul_u32_u24_e32 v1, 56, v3
                                        ; implicit-def: $vgpr3
	v_sub_nc_u32_e32 v94, v0, v1
                                        ; implicit-def: $vgpr0
                                        ; implicit-def: $vgpr1_vgpr2
	v_add_nc_u32_e32 v98, 56, v94
	v_add_nc_u32_e32 v109, 0x70, v94
	;; [unrolled: 1-line block ×7, first 2 shown]
	v_or_b32_e32 v101, 0x1c0, v94
	v_add_nc_u32_e32 v103, 0x1f8, v94
	v_add_nc_u32_e32 v100, 0x230, v94
.LBB0_11:
	s_andn2_saveexec_b32 s1, s0
	s_cbranch_execz .LBB0_13
; %bb.12:
	s_add_u32 s4, s16, s4
	s_addc_u32 s5, s17, s5
	v_mul_u32_u24_e32 v3, 56, v3
	s_load_dwordx2 s[4:5], s[4:5], 0x0
	v_sub_nc_u32_e32 v94, v0, v3
	v_lshlrev_b64 v[0:1], 4, v[1:2]
	v_or_b32_e32 v101, 0x1c0, v94
	v_lshlrev_b32_e32 v84, 4, v94
	v_add_nc_u32_e32 v98, 56, v94
	v_add_nc_u32_e32 v109, 0x70, v94
	;; [unrolled: 1-line block ×9, first 2 shown]
	s_waitcnt lgkmcnt(0)
	v_mul_lo_u32 v6, s5, v96
	v_mul_lo_u32 v7, s4, v97
	v_mad_u64_u32 v[4:5], null, s4, v96, 0
	v_add3_u32 v5, v5, v7, v6
	v_lshlrev_b64 v[3:4], 4, v[4:5]
	v_add_co_u32 v2, s0, s8, v3
	v_add_co_ci_u32_e64 v3, s0, s9, v4, s0
	v_lshlrev_b32_e32 v4, 4, v101
	v_add_co_u32 v0, s0, v2, v0
	v_add_co_ci_u32_e64 v1, s0, v3, v1, s0
	v_or_b32_e32 v2, 0x3800, v84
	v_add_co_u32 v32, s0, v0, v84
	v_add_co_ci_u32_e64 v33, s0, 0, v1, s0
	v_add_co_u32 v8, s0, v0, v4
	v_add_co_ci_u32_e64 v9, s0, 0, v1, s0
	;; [unrolled: 2-line block ×11, first 2 shown]
	s_clause 0x14
	global_load_dwordx4 v[0:3], v[32:33], off
	global_load_dwordx4 v[4:7], v[32:33], off offset:896
	global_load_dwordx4 v[8:11], v[8:9], off
	global_load_dwordx4 v[12:15], v[12:13], off
	global_load_dwordx4 v[16:19], v[32:33], off offset:1792
	global_load_dwordx4 v[20:23], v[24:25], off offset:640
	;; [unrolled: 1-line block ×17, first 2 shown]
	v_add_nc_u32_e32 v84, 0, v84
	s_waitcnt vmcnt(20)
	ds_write_b128 v84, v[0:3]
	s_waitcnt vmcnt(19)
	ds_write_b128 v84, v[4:7] offset:896
	s_waitcnt vmcnt(16)
	ds_write_b128 v84, v[16:19] offset:1792
	ds_write_b128 v84, v[8:11] offset:7168
	;; [unrolled: 1-line block ×3, first 2 shown]
	s_waitcnt vmcnt(15)
	ds_write_b128 v84, v[20:23] offset:2688
	s_waitcnt vmcnt(14)
	ds_write_b128 v84, v[24:27] offset:3584
	;; [unrolled: 2-line block ×16, first 2 shown]
.LBB0_13:
	s_or_b32 exec_lo, exec_lo, s1
	v_lshlrev_b32_e32 v95, 4, v94
	s_load_dwordx2 s[2:3], s[2:3], 0x0
	s_waitcnt lgkmcnt(0)
	s_barrier
	buffer_gl0_inv
	v_add_nc_u32_e32 v102, 0, v95
	v_lshl_add_u32 v110, v109, 5, 0
	v_lshl_add_u32 v99, v98, 5, 0
	v_lshl_add_u32 v116, v103, 5, 0
	v_cmp_gt_u32_e64 s0, 28, v94
	ds_read_b128 v[0:3], v102 offset:9408
	ds_read_b128 v[4:7], v102
	ds_read_b128 v[8:11], v102 offset:896
	ds_read_b128 v[12:15], v102 offset:10304
	;; [unrolled: 1-line block ×20, first 2 shown]
	v_add_nc_u32_e32 v111, v102, v95
	s_waitcnt lgkmcnt(0)
	s_barrier
	buffer_gl0_inv
	v_add_f64 v[20:21], v[24:25], -v[20:21]
	v_add_f64 v[22:23], v[26:27], -v[22:23]
	;; [unrolled: 1-line block ×20, first 2 shown]
	ds_write_b128 v111, v[0:3] offset:16
	ds_write_b128 v99, v[12:15] offset:16
	v_fma_f64 v[88:89], v[4:5], 2.0, -v[0:1]
	v_fma_f64 v[90:91], v[6:7], 2.0, -v[2:3]
	v_add_f64 v[4:5], v[16:17], -v[84:85]
	v_add_f64 v[6:7], v[18:19], -v[86:87]
	v_fma_f64 v[8:9], v[8:9], 2.0, -v[12:13]
	v_fma_f64 v[10:11], v[10:11], 2.0, -v[14:15]
	;; [unrolled: 1-line block ×4, first 2 shown]
	ds_write_b128 v110, v[20:23] offset:16
	v_fma_f64 v[20:21], v[28:29], 2.0, -v[32:33]
	v_fma_f64 v[22:23], v[30:31], 2.0, -v[34:35]
	;; [unrolled: 1-line block ×11, first 2 shown]
	ds_write_b128 v111, v[88:91]
	ds_write_b128 v99, v[8:11]
	v_fma_f64 v[8:9], v[60:61], 2.0, -v[64:65]
	v_fma_f64 v[10:11], v[62:63], 2.0, -v[66:67]
	;; [unrolled: 1-line block ×5, first 2 shown]
	v_lshl_add_u32 v60, v108, 5, 0
	v_lshl_add_u32 v61, v107, 5, 0
	;; [unrolled: 1-line block ×6, first 2 shown]
	ds_write_b128 v110, v[12:15]
	ds_write_b128 v60, v[32:35] offset:16
	ds_write_b128 v60, v[20:23]
	ds_write_b128 v61, v[36:39] offset:16
	ds_write_b128 v61, v[24:27]
	ds_write_b128 v88, v[28:31]
	ds_write_b128 v88, v[48:51] offset:16
	ds_write_b128 v89, v[40:43]
	ds_write_b128 v89, v[52:55] offset:16
	ds_write_b128 v90, v[64:67] offset:16
	ds_write_b128 v90, v[8:11]
	ds_write_b128 v91, v[44:47]
	ds_write_b128 v91, v[68:71] offset:16
	ds_write_b128 v116, v[56:59]
	ds_write_b128 v116, v[80:83] offset:16
	s_and_saveexec_b32 s1, s0
	s_cbranch_execz .LBB0_15
; %bb.14:
	v_lshl_add_u32 v8, v100, 5, 0
	ds_write_b128 v8, v[0:3]
	ds_write_b128 v8, v[4:7] offset:16
.LBB0_15:
	s_or_b32 exec_lo, exec_lo, s1
	v_lshlrev_b32_e32 v117, 4, v106
	v_lshlrev_b32_e32 v128, 4, v105
	v_lshlrev_b32_e32 v118, 4, v104
	v_lshlrev_b32_e32 v129, 4, v101
	v_lshlrev_b32_e32 v130, 4, v103
	v_lshl_add_u32 v114, v109, 4, 0
	v_lshl_add_u32 v112, v107, 4, 0
	;; [unrolled: 1-line block ×3, first 2 shown]
	v_sub_nc_u32_e32 v20, v88, v117
	v_sub_nc_u32_e32 v28, v89, v128
	;; [unrolled: 1-line block ×5, first 2 shown]
	s_waitcnt lgkmcnt(0)
	s_barrier
	buffer_gl0_inv
	ds_read_b128 v[8:11], v102
	ds_read_b128 v[44:47], v102 offset:9408
	v_lshl_add_u32 v115, v98, 4, 0
	ds_read_b128 v[52:55], v102 offset:10304
	ds_read_b128 v[48:51], v102 offset:11200
	ds_read_b128 v[16:19], v114
	ds_read_b128 v[12:15], v113
	ds_read_b128 v[64:67], v102 offset:12096
	ds_read_b128 v[60:63], v102 offset:12992
	ds_read_b128 v[24:27], v112
	ds_read_b128 v[20:23], v20
	;; [unrolled: 4-line block ×3, first 2 shown]
	ds_read_b128 v[32:35], v30
	ds_read_b128 v[28:31], v31
	ds_read_b128 v[84:87], v102 offset:15680
	ds_read_b128 v[76:79], v102 offset:16576
	ds_read_b128 v[56:59], v115
	ds_read_b128 v[80:83], v102 offset:17472
	v_lshlrev_b32_e32 v127, 1, v98
	v_lshlrev_b32_e32 v126, 1, v109
	;; [unrolled: 1-line block ×9, first 2 shown]
	v_lshl_add_u32 v111, v100, 4, 0
	s_and_saveexec_b32 s1, s0
	s_cbranch_execz .LBB0_17
; %bb.16:
	ds_read_b128 v[0:3], v111
	ds_read_b128 v[4:7], v102 offset:18368
.LBB0_17:
	s_or_b32 exec_lo, exec_lo, s1
	v_and_b32_e32 v120, 1, v94
	v_sub_nc_u32_e32 v118, 0, v118
	v_sub_nc_u32_e32 v131, 0, v129
	;; [unrolled: 1-line block ×3, first 2 shown]
	v_lshlrev_b32_e32 v129, 1, v100
	v_lshlrev_b32_e32 v119, 4, v120
	v_and_or_b32 v137, 0xfc, v127, v120
	v_and_or_b32 v138, 0x1fc, v126, v120
	;; [unrolled: 1-line block ×4, first 2 shown]
	global_load_dwordx4 v[132:135], v119, s[12:13]
	v_sub_nc_u32_e32 v119, 0, v117
	v_sub_nc_u32_e32 v117, 0, v128
	v_lshlrev_b32_e32 v128, 1, v94
	v_and_or_b32 v141, 0x2fc, v123, v120
	v_and_or_b32 v142, 0x3fc, v122, v120
	;; [unrolled: 1-line block ×5, first 2 shown]
	v_lshl_add_u32 v180, v137, 4, 0
	v_lshl_add_u32 v181, v138, 4, 0
	;; [unrolled: 1-line block ×9, first 2 shown]
	v_and_or_b32 v178, 0x7fc, v99, v120
	s_waitcnt vmcnt(0) lgkmcnt(0)
	s_barrier
	buffer_gl0_inv
	v_mul_f64 v[136:137], v[46:47], v[134:135]
	v_mul_f64 v[138:139], v[44:45], v[134:135]
	;; [unrolled: 1-line block ×22, first 2 shown]
	v_fma_f64 v[44:45], v[44:45], v[132:133], v[136:137]
	v_fma_f64 v[46:47], v[46:47], v[132:133], -v[138:139]
	v_fma_f64 v[52:53], v[52:53], v[132:133], v[140:141]
	v_fma_f64 v[54:55], v[54:55], v[132:133], -v[142:143]
	;; [unrolled: 2-line block ×11, first 2 shown]
	v_add_f64 v[44:45], v[8:9], -v[44:45]
	v_add_f64 v[46:47], v[10:11], -v[46:47]
	;; [unrolled: 1-line block ×22, first 2 shown]
	v_fma_f64 v[8:9], v[8:9], 2.0, -v[44:45]
	v_fma_f64 v[10:11], v[10:11], 2.0, -v[46:47]
	;; [unrolled: 1-line block ×22, first 2 shown]
	v_lshl_add_u32 v132, v178, 4, 0
	ds_write_b128 v179, v[44:47] offset:32
	ds_write_b128 v179, v[8:11]
	ds_write_b128 v180, v[56:59]
	ds_write_b128 v180, v[48:51] offset:32
	ds_write_b128 v181, v[16:19]
	ds_write_b128 v181, v[52:55] offset:32
	;; [unrolled: 2-line block ×9, first 2 shown]
	s_and_saveexec_b32 s1, s0
	s_cbranch_execz .LBB0_19
; %bb.18:
	v_and_or_b32 v8, 0x4fc, v129, v120
	v_lshl_add_u32 v8, v8, 4, 0
	ds_write_b128 v8, v[0:3]
	ds_write_b128 v8, v[4:7] offset:32
.LBB0_19:
	s_or_b32 exec_lo, exec_lo, s1
	v_add_nc_u32_e32 v120, v88, v119
	v_add_nc_u32_e32 v119, v89, v117
	;; [unrolled: 1-line block ×4, first 2 shown]
	s_waitcnt lgkmcnt(0)
	s_barrier
	buffer_gl0_inv
	ds_read_b128 v[8:11], v102
	ds_read_b128 v[48:51], v102 offset:9408
	ds_read_b128 v[52:55], v102 offset:10304
	;; [unrolled: 1-line block ×3, first 2 shown]
	ds_read_b128 v[20:23], v114
	ds_read_b128 v[12:15], v113
	ds_read_b128 v[64:67], v102 offset:12096
	ds_read_b128 v[60:63], v102 offset:12992
	ds_read_b128 v[24:27], v112
	ds_read_b128 v[16:19], v120
	ds_read_b128 v[72:75], v102 offset:13888
	ds_read_b128 v[68:71], v102 offset:14784
	v_add_nc_u32_e32 v116, v116, v130
	ds_read_b128 v[36:39], v119
	ds_read_b128 v[28:31], v118
	ds_read_b128 v[80:83], v102 offset:15680
	ds_read_b128 v[76:79], v102 offset:16576
	ds_read_b128 v[40:43], v117
	ds_read_b128 v[32:35], v116
	;; [unrolled: 1-line block ×3, first 2 shown]
	ds_read_b128 v[84:87], v102 offset:17472
	s_and_saveexec_b32 s1, s0
	s_cbranch_execz .LBB0_21
; %bb.20:
	ds_read_b128 v[0:3], v111
	ds_read_b128 v[4:7], v102 offset:18368
.LBB0_21:
	s_or_b32 exec_lo, exec_lo, s1
	v_and_b32_e32 v130, 3, v94
	v_lshlrev_b32_e32 v88, 4, v130
	v_and_or_b32 v128, 0x78, v128, v130
	v_and_or_b32 v166, 0x3f8, v124, v130
	;; [unrolled: 1-line block ×4, first 2 shown]
	global_load_dwordx4 v[88:91], v88, s[12:13] offset:32
	v_and_or_b32 v169, 0x3f8, v121, v130
	v_and_or_b32 v163, 0xf8, v127, v130
	;; [unrolled: 1-line block ×4, first 2 shown]
	v_lshl_add_u32 v170, v128, 4, 0
	v_and_or_b32 v110, 0x3f8, v110, v130
	v_and_or_b32 v99, 0x7f8, v99, v130
	v_lshl_add_u32 v163, v163, 4, 0
	v_lshl_add_u32 v164, v164, 4, 0
	s_waitcnt vmcnt(0) lgkmcnt(0)
	s_barrier
	buffer_gl0_inv
	v_lshl_add_u32 v110, v110, 4, 0
	v_lshl_add_u32 v99, v99, 4, 0
	v_mul_f64 v[121:122], v[50:51], v[90:91]
	v_mul_f64 v[123:124], v[48:49], v[90:91]
	;; [unrolled: 1-line block ×20, first 2 shown]
	v_fma_f64 v[48:49], v[48:49], v[88:89], v[121:122]
	v_fma_f64 v[50:51], v[50:51], v[88:89], -v[123:124]
	v_fma_f64 v[52:53], v[52:53], v[88:89], v[125:126]
	v_fma_f64 v[54:55], v[54:55], v[88:89], -v[127:128]
	;; [unrolled: 2-line block ×10, first 2 shown]
	v_lshl_add_u32 v135, v165, 4, 0
	v_lshl_add_u32 v136, v166, 4, 0
	v_add_f64 v[48:49], v[8:9], -v[48:49]
	v_add_f64 v[50:51], v[10:11], -v[50:51]
	;; [unrolled: 1-line block ×20, first 2 shown]
	v_lshl_add_u32 v121, v167, 4, 0
	v_lshl_add_u32 v122, v168, 4, 0
	v_fma_f64 v[8:9], v[8:9], 2.0, -v[48:49]
	v_fma_f64 v[10:11], v[10:11], 2.0, -v[50:51]
	;; [unrolled: 1-line block ×20, first 2 shown]
	v_lshl_add_u32 v123, v169, 4, 0
	ds_write_b128 v170, v[48:51] offset:64
	ds_write_b128 v170, v[8:11]
	ds_write_b128 v163, v[44:47]
	ds_write_b128 v163, v[52:55] offset:64
	ds_write_b128 v164, v[20:23]
	ds_write_b128 v164, v[56:59] offset:64
	;; [unrolled: 2-line block ×9, first 2 shown]
	s_and_saveexec_b32 s1, s0
	s_cbranch_execz .LBB0_23
; %bb.22:
	v_mul_f64 v[8:9], v[4:5], v[90:91]
	v_mul_f64 v[10:11], v[6:7], v[90:91]
	v_fma_f64 v[6:7], v[6:7], v[88:89], -v[8:9]
	v_fma_f64 v[4:5], v[4:5], v[88:89], v[10:11]
	v_and_or_b32 v8, 0x4f8, v129, v130
	v_lshl_add_u32 v8, v8, 4, 0
	v_add_f64 v[6:7], v[2:3], -v[6:7]
	v_add_f64 v[4:5], v[0:1], -v[4:5]
	v_fma_f64 v[2:3], v[2:3], 2.0, -v[6:7]
	v_fma_f64 v[0:1], v[0:1], 2.0, -v[4:5]
	ds_write_b128 v8, v[0:3]
	ds_write_b128 v8, v[4:7] offset:64
.LBB0_23:
	s_or_b32 exec_lo, exec_lo, s1
	v_and_b32_e32 v110, 7, v94
	s_waitcnt lgkmcnt(0)
	s_barrier
	buffer_gl0_inv
	v_lshrrev_b32_e32 v99, 3, v94
	v_lshlrev_b32_e32 v0, 5, v110
	v_and_b32_e32 v127, 0xff, v94
	v_lshrrev_b32_e32 v121, 3, v98
	v_lshrrev_b32_e32 v122, 3, v109
	;; [unrolled: 1-line block ×3, first 2 shown]
	s_clause 0x1
	global_load_dwordx4 v[32:35], v0, s[12:13] offset:96
	global_load_dwordx4 v[28:31], v0, s[12:13] offset:112
	v_lshrrev_b32_e32 v124, 3, v107
	v_lshrrev_b32_e32 v125, 3, v106
	;; [unrolled: 1-line block ×3, first 2 shown]
	ds_read_b128 v[84:87], v118
	ds_read_b128 v[24:27], v102
	ds_read_b128 v[72:75], v102 offset:7168
	ds_read_b128 v[20:23], v115
	ds_read_b128 v[12:15], v114
	ds_read_b128 v[76:79], v102 offset:13440
	ds_read_b128 v[52:55], v102 offset:14336
	ds_read_b128 v[80:83], v102 offset:8064
	ds_read_b128 v[56:59], v102 offset:8960
	ds_read_b128 v[16:19], v113
	ds_read_b128 v[4:7], v112
	ds_read_b128 v[60:63], v102 offset:15232
	ds_read_b128 v[36:39], v102 offset:16128
	ds_read_b128 v[64:67], v102 offset:9856
	ds_read_b128 v[40:43], v102 offset:10752
	ds_read_b128 v[8:11], v120
	ds_read_b128 v[0:3], v119
	ds_read_b128 v[88:91], v102 offset:12544
	ds_read_b128 v[44:47], v102 offset:11648
	ds_read_b128 v[68:71], v102 offset:17024
	ds_read_b128 v[48:51], v102 offset:17920
	v_and_b32_e32 v128, 0xff, v98
	v_mul_u32_u24_e32 v99, 24, v99
	v_mul_lo_u16 v127, 0xab, v127
	v_mul_lo_u32 v121, v121, 24
	v_mul_lo_u32 v122, v122, 24
	;; [unrolled: 1-line block ×6, first 2 shown]
	v_mul_lo_u16 v174, 0xab, v128
	v_or_b32_e32 v128, v99, v110
	v_lshrrev_b16 v99, 12, v127
	v_or_b32_e32 v121, v121, v110
	v_or_b32_e32 v122, v122, v110
	;; [unrolled: 1-line block ×5, first 2 shown]
	v_mul_lo_u16 v127, v99, 24
	v_or_b32_e32 v126, v126, v110
	v_lshl_add_u32 v175, v128, 4, 0
	v_lshl_add_u32 v176, v121, 4, 0
	;; [unrolled: 1-line block ×3, first 2 shown]
	v_sub_nc_u16 v110, v94, v127
	v_lshl_add_u32 v178, v123, 4, 0
	v_lshl_add_u32 v179, v124, 4, 0
	;; [unrolled: 1-line block ×4, first 2 shown]
	s_mov_b32 s4, 0xe8584caa
	s_mov_b32 s5, 0xbfebb67a
	s_mov_b32 s7, 0x3febb67a
	s_mov_b32 s6, s4
	v_mov_b32_e32 v173, 6
	s_waitcnt vmcnt(0) lgkmcnt(0)
	s_barrier
	buffer_gl0_inv
	s_mov_b32 s18, 0x37e14327
	v_mul_u32_u24_sdwa v182, v110, v173 dst_sel:DWORD dst_unused:UNUSED_PAD src0_sel:BYTE_0 src1_sel:DWORD
	s_mov_b32 s26, 0xe976ee23
	s_mov_b32 s8, 0x429ad128
	;; [unrolled: 1-line block ×15, first 2 shown]
	v_mul_f64 v[121:122], v[86:87], v[34:35]
	v_mul_f64 v[123:124], v[84:85], v[34:35]
	v_mul_f64 v[125:126], v[90:91], v[30:31]
	v_mul_f64 v[127:128], v[88:89], v[30:31]
	v_mul_f64 v[129:130], v[74:75], v[34:35]
	v_mul_f64 v[131:132], v[72:73], v[34:35]
	v_mul_f64 v[133:134], v[78:79], v[30:31]
	v_mul_f64 v[135:136], v[76:77], v[30:31]
	v_mul_f64 v[137:138], v[82:83], v[34:35]
	v_mul_f64 v[139:140], v[80:81], v[34:35]
	v_mul_f64 v[141:142], v[54:55], v[30:31]
	v_mul_f64 v[143:144], v[52:53], v[30:31]
	v_mul_f64 v[145:146], v[58:59], v[34:35]
	v_mul_f64 v[147:148], v[56:57], v[34:35]
	v_mul_f64 v[149:150], v[62:63], v[30:31]
	v_mul_f64 v[151:152], v[60:61], v[30:31]
	v_mul_f64 v[153:154], v[66:67], v[34:35]
	v_mul_f64 v[155:156], v[64:65], v[34:35]
	v_mul_f64 v[157:158], v[38:39], v[30:31]
	v_mul_f64 v[159:160], v[36:37], v[30:31]
	v_mul_f64 v[161:162], v[42:43], v[34:35]
	v_mul_f64 v[163:164], v[40:41], v[34:35]
	v_mul_f64 v[165:166], v[70:71], v[30:31]
	v_mul_f64 v[167:168], v[68:69], v[30:31]
	v_mul_f64 v[169:170], v[46:47], v[34:35]
	v_mul_f64 v[34:35], v[44:45], v[34:35]
	v_mul_f64 v[171:172], v[50:51], v[30:31]
	v_mul_f64 v[30:31], v[48:49], v[30:31]
	v_fma_f64 v[84:85], v[84:85], v[32:33], v[121:122]
	v_fma_f64 v[86:87], v[86:87], v[32:33], -v[123:124]
	v_fma_f64 v[88:89], v[88:89], v[28:29], v[125:126]
	v_fma_f64 v[90:91], v[90:91], v[28:29], -v[127:128]
	;; [unrolled: 2-line block ×14, first 2 shown]
	v_add_f64 v[30:31], v[84:85], v[88:89]
	v_add_f64 v[48:49], v[86:87], -v[90:91]
	v_add_f64 v[50:51], v[26:27], v[86:87]
	v_add_f64 v[86:87], v[86:87], v[90:91]
	v_add_f64 v[121:122], v[20:21], v[72:73]
	v_add_f64 v[123:124], v[72:73], v[76:77]
	v_add_f64 v[125:126], v[74:75], -v[78:79]
	v_add_f64 v[127:128], v[22:23], v[74:75]
	v_add_f64 v[74:75], v[74:75], v[78:79]
	v_add_f64 v[129:130], v[12:13], v[80:81]
	;; [unrolled: 5-line block ×4, first 2 shown]
	v_add_f64 v[149:150], v[66:67], -v[38:39]
	v_add_f64 v[151:152], v[6:7], v[66:67]
	v_add_f64 v[66:67], v[66:67], v[38:39]
	;; [unrolled: 1-line block ×3, first 2 shown]
	v_add_f64 v[157:158], v[42:43], -v[70:71]
	v_add_f64 v[159:160], v[10:11], v[42:43]
	v_add_f64 v[42:43], v[42:43], v[70:71]
	;; [unrolled: 1-line block ×4, first 2 shown]
	v_add_f64 v[165:166], v[32:33], -v[46:47]
	v_add_f64 v[167:168], v[2:3], v[32:33]
	v_add_f64 v[32:33], v[32:33], v[46:47]
	v_add_f64 v[84:85], v[84:85], -v[88:89]
	v_add_f64 v[145:146], v[56:57], -v[60:61]
	v_add_f64 v[56:57], v[4:5], v[64:65]
	v_add_f64 v[153:154], v[64:65], -v[36:37]
	v_add_f64 v[64:65], v[8:9], v[40:41]
	;; [unrolled: 2-line block ×3, first 2 shown]
	v_add_f64 v[169:170], v[44:45], -v[34:35]
	v_fma_f64 v[44:45], v[30:31], -0.5, v[24:25]
	v_add_f64 v[30:31], v[50:51], v[90:91]
	v_fma_f64 v[50:51], v[86:87], -0.5, v[26:27]
	v_add_f64 v[72:73], v[72:73], -v[76:77]
	v_add_f64 v[24:25], v[121:122], v[76:77]
	v_fma_f64 v[76:77], v[123:124], -0.5, v[20:21]
	v_fma_f64 v[74:75], v[74:75], -0.5, v[22:23]
	v_add_f64 v[80:81], v[80:81], -v[52:53]
	v_add_f64 v[20:21], v[129:130], v[52:53]
	v_fma_f64 v[52:53], v[131:132], -0.5, v[12:13]
	v_add_f64 v[22:23], v[135:136], v[54:55]
	v_fma_f64 v[54:55], v[82:83], -0.5, v[14:15]
	;; [unrolled: 2-line block ×3, first 2 shown]
	v_fma_f64 v[58:59], v[58:59], -0.5, v[18:19]
	v_add_f64 v[14:15], v[143:144], v[62:63]
	v_fma_f64 v[62:63], v[147:148], -0.5, v[4:5]
	v_fma_f64 v[66:67], v[66:67], -0.5, v[6:7]
	v_add_f64 v[26:27], v[127:128], v[78:79]
	v_fma_f64 v[78:79], v[155:156], -0.5, v[8:9]
	;; [unrolled: 3-line block ×3, first 2 shown]
	v_fma_f64 v[88:89], v[32:33], -0.5, v[2:3]
	v_fma_f64 v[0:1], v[48:49], s[4:5], v[44:45]
	v_fma_f64 v[2:3], v[84:85], s[6:7], v[50:51]
	v_add_f64 v[8:9], v[40:41], v[34:35]
	v_fma_f64 v[32:33], v[48:49], s[6:7], v[44:45]
	v_fma_f64 v[34:35], v[84:85], s[4:5], v[50:51]
	v_add_f64 v[16:17], v[56:57], v[36:37]
	v_add_f64 v[18:19], v[151:152], v[38:39]
	v_fma_f64 v[36:37], v[125:126], s[4:5], v[76:77]
	v_fma_f64 v[38:39], v[72:73], s[6:7], v[74:75]
	;; [unrolled: 1-line block ×4, first 2 shown]
	v_add_f64 v[10:11], v[167:168], v[46:47]
	v_fma_f64 v[44:45], v[133:134], s[4:5], v[52:53]
	v_fma_f64 v[46:47], v[80:81], s[6:7], v[54:55]
	;; [unrolled: 1-line block ×8, first 2 shown]
	v_add_f64 v[4:5], v[64:65], v[68:69]
	v_fma_f64 v[60:61], v[149:150], s[4:5], v[62:63]
	v_fma_f64 v[64:65], v[149:150], s[6:7], v[62:63]
	;; [unrolled: 1-line block ×4, first 2 shown]
	v_add_f64 v[6:7], v[159:160], v[70:71]
	v_fma_f64 v[68:69], v[157:158], s[4:5], v[78:79]
	v_fma_f64 v[70:71], v[161:162], s[6:7], v[82:83]
	;; [unrolled: 1-line block ×8, first 2 shown]
	ds_write_b128 v175, v[28:31]
	ds_write_b128 v175, v[0:3] offset:128
	ds_write_b128 v175, v[32:35] offset:256
	ds_write_b128 v176, v[24:27]
	ds_write_b128 v176, v[36:39] offset:128
	ds_write_b128 v176, v[40:43] offset:256
	;; [unrolled: 3-line block ×7, first 2 shown]
	v_lshrrev_b16 v75, 12, v174
	v_lshlrev_b32_e32 v84, 4, v182
	s_waitcnt lgkmcnt(0)
	s_barrier
	buffer_gl0_inv
	v_mul_lo_u16 v0, v75, 24
	s_clause 0x2
	global_load_dwordx4 v[8:11], v84, s[12:13] offset:368
	global_load_dwordx4 v[4:7], v84, s[12:13] offset:384
	;; [unrolled: 1-line block ×3, first 2 shown]
	v_and_b32_e32 v16, 0xff, v109
	v_sub_nc_u16 v74, v98, v0
	s_clause 0x2
	global_load_dwordx4 v[0:3], v84, s[12:13] offset:400
	global_load_dwordx4 v[60:63], v84, s[12:13] offset:416
	;; [unrolled: 1-line block ×3, first 2 shown]
	v_mul_lo_u16 v16, 0xab, v16
	v_mul_u32_u24_sdwa v17, v74, v173 dst_sel:DWORD dst_unused:UNUSED_PAD src0_sel:BYTE_0 src1_sel:DWORD
	v_mul_u32_u24_e32 v78, 6, v94
	v_mov_b32_e32 v82, 0xa80
	v_mov_b32_e32 v125, 4
	v_lshrrev_b16 v77, 12, v16
	v_lshlrev_b32_e32 v17, 4, v17
	v_lshlrev_b32_e32 v83, 4, v78
	v_mul_u32_u24_sdwa v99, v99, v82 dst_sel:DWORD dst_unused:UNUSED_PAD src0_sel:WORD_0 src1_sel:DWORD
	v_mul_u32_u24_sdwa v126, v75, v82 dst_sel:DWORD dst_unused:UNUSED_PAD src0_sel:WORD_0 src1_sel:DWORD
	v_mul_lo_u16 v16, v77, 24
	s_clause 0x4
	global_load_dwordx4 v[52:55], v17, s[12:13] offset:352
	global_load_dwordx4 v[36:39], v17, s[12:13] offset:368
	global_load_dwordx4 v[28:31], v17, s[12:13] offset:384
	global_load_dwordx4 v[24:27], v17, s[12:13] offset:400
	global_load_dwordx4 v[20:23], v17, s[12:13] offset:416
	v_sub_nc_u16 v76, v109, v16
	v_add_co_u32 v185, s1, s12, v83
	v_mul_u32_u24_sdwa v129, v77, v82 dst_sel:DWORD dst_unused:UNUSED_PAD src0_sel:WORD_0 src1_sel:DWORD
	v_lshlrev_b32_sdwa v110, v125, v110 dst_sel:DWORD dst_unused:UNUSED_PAD src0_sel:DWORD src1_sel:BYTE_0
	v_mul_u32_u24_sdwa v16, v76, v173 dst_sel:DWORD dst_unused:UNUSED_PAD src0_sel:BYTE_0 src1_sel:DWORD
	v_lshlrev_b32_sdwa v127, v125, v74 dst_sel:DWORD dst_unused:UNUSED_PAD src0_sel:DWORD src1_sel:BYTE_0
	v_lshlrev_b32_sdwa v130, v125, v76 dst_sel:DWORD dst_unused:UNUSED_PAD src0_sel:DWORD src1_sel:BYTE_0
	s_mov_b32 s6, 0x36b3c0b5
	v_add3_u32 v99, 0, v99, v110
	v_lshlrev_b32_e32 v64, 4, v16
	s_clause 0x6
	global_load_dwordx4 v[16:19], v17, s[12:13] offset:432
	global_load_dwordx4 v[48:51], v64, s[12:13] offset:352
	;; [unrolled: 1-line block ×7, first 2 shown]
	ds_read_b128 v[82:85], v119
	ds_read_b128 v[86:89], v116
	ds_read_b128 v[121:124], v102 offset:10752
	ds_read_b128 v[74:77], v102 offset:13440
	ds_read_b128 v[78:81], v113
	v_add3_u32 v110, 0, v126, v127
	ds_read_b128 v[125:128], v102 offset:16128
	v_add3_u32 v187, 0, v129, v130
	ds_read_b128 v[129:132], v102
	ds_read_b128 v[133:136], v102 offset:3584
	ds_read_b128 v[137:140], v102 offset:6272
	;; [unrolled: 1-line block ×7, first 2 shown]
	s_mov_b32 s7, 0x3fac98ee
	s_mov_b32 s4, 0xaaaaaaaa
	;; [unrolled: 1-line block ×3, first 2 shown]
	v_add_co_ci_u32_e64 v186, null, s13, 0, s1
	v_add_co_u32 v161, s1, 0xa60, v185
	v_mov_b32_e32 v73, 0
	v_add_co_ci_u32_e64 v162, s1, 0, v186, s1
	v_add_co_u32 v163, s1, 0x800, v185
	v_add_co_ci_u32_e64 v164, s1, 0, v186, s1
	v_mul_i32_i24_e32 v72, 6, v98
	v_lshlrev_b64 v[90:91], 4, v[72:73]
	v_mul_i32_i24_e32 v72, 6, v109
	s_waitcnt vmcnt(17) lgkmcnt(13)
	v_mul_f64 v[167:168], v[84:85], v[10:11]
	s_waitcnt vmcnt(16) lgkmcnt(12)
	v_mul_f64 v[171:172], v[88:89], v[6:7]
	;; [unrolled: 2-line block ×3, first 2 shown]
	v_mul_f64 v[14:15], v[78:79], v[14:15]
	v_mul_f64 v[169:170], v[82:83], v[10:11]
	s_waitcnt vmcnt(14)
	v_mul_f64 v[175:176], v[123:124], v[2:3]
	v_mul_f64 v[177:178], v[121:122], v[2:3]
	v_mul_f64 v[173:174], v[86:87], v[6:7]
	s_waitcnt vmcnt(13)
	v_mul_f64 v[179:180], v[76:77], v[62:63]
	v_mul_f64 v[62:63], v[74:75], v[62:63]
	s_waitcnt vmcnt(12) lgkmcnt(8)
	v_mul_f64 v[181:182], v[127:128], v[58:59]
	v_mul_f64 v[58:59], v[125:126], v[58:59]
	s_waitcnt vmcnt(11) lgkmcnt(6)
	v_mul_f64 v[183:184], v[135:136], v[54:55]
	v_mul_f64 v[54:55], v[133:134], v[54:55]
	v_fma_f64 v[167:168], v[82:83], v[8:9], v[167:168]
	v_fma_f64 v[86:87], v[86:87], v[4:5], v[171:172]
	s_waitcnt vmcnt(10) lgkmcnt(5)
	v_mul_f64 v[171:172], v[139:140], v[38:39]
	v_mul_f64 v[38:39], v[137:138], v[38:39]
	v_fma_f64 v[165:166], v[78:79], v[12:13], v[165:166]
	v_fma_f64 v[121:122], v[121:122], v[0:1], v[175:176]
	v_fma_f64 v[0:1], v[123:124], v[0:1], -v[177:178]
	s_waitcnt vmcnt(9) lgkmcnt(4)
	v_mul_f64 v[123:124], v[143:144], v[30:31]
	v_fma_f64 v[14:15], v[80:81], v[12:13], -v[14:15]
	ds_read_b128 v[10:13], v102 offset:15232
	v_fma_f64 v[169:170], v[84:85], v[8:9], -v[169:170]
	ds_read_b128 v[6:9], v102 offset:4480
	;; [unrolled: 2-line block ×3, first 2 shown]
	ds_read_b128 v[78:81], v102 offset:12544
	ds_read_b128 v[82:85], v102 offset:17920
	v_fma_f64 v[74:75], v[74:75], v[60:61], v[179:180]
	v_fma_f64 v[60:61], v[76:77], v[60:61], -v[62:63]
	s_waitcnt vmcnt(7) lgkmcnt(6)
	v_mul_f64 v[76:77], v[155:156], v[22:23]
	v_fma_f64 v[125:126], v[125:126], v[56:57], v[181:182]
	v_fma_f64 v[56:57], v[127:128], v[56:57], -v[58:59]
	v_mul_f64 v[58:59], v[153:154], v[22:23]
	s_waitcnt vmcnt(6) lgkmcnt(5)
	v_mul_f64 v[127:128], v[159:160], v[18:19]
	v_mul_f64 v[18:19], v[157:158], v[18:19]
	;; [unrolled: 1-line block ×5, first 2 shown]
	v_fma_f64 v[133:134], v[133:134], v[52:53], v[183:184]
	v_fma_f64 v[52:53], v[135:136], v[52:53], -v[54:55]
	s_waitcnt vmcnt(3)
	v_mul_f64 v[135:136], v[147:148], v[42:43]
	v_fma_f64 v[137:138], v[137:138], v[36:37], v[171:172]
	v_fma_f64 v[36:37], v[139:140], v[36:37], -v[38:39]
	s_waitcnt lgkmcnt(3)
	v_mul_f64 v[173:174], v[8:9], v[50:51]
	v_mul_f64 v[50:51], v[6:7], v[50:51]
	s_waitcnt lgkmcnt(2)
	v_mul_f64 v[54:55], v[4:5], v[46:47]
	v_mul_f64 v[46:47], v[2:3], v[46:47]
	;; [unrolled: 1-line block ×3, first 2 shown]
	s_waitcnt vmcnt(2) lgkmcnt(1)
	v_mul_f64 v[42:43], v[80:81], v[34:35]
	v_mul_f64 v[34:35], v[78:79], v[34:35]
	s_waitcnt vmcnt(1)
	v_mul_f64 v[139:140], v[12:13], v[70:71]
	v_fma_f64 v[123:124], v[141:142], v[28:29], v[123:124]
	v_mul_f64 v[70:71], v[10:11], v[70:71]
	s_waitcnt vmcnt(0) lgkmcnt(0)
	v_mul_f64 v[141:142], v[84:85], v[66:67]
	v_mul_f64 v[66:67], v[82:83], v[66:67]
	v_fma_f64 v[76:77], v[153:154], v[20:21], v[76:77]
	v_fma_f64 v[20:21], v[155:156], v[20:21], -v[58:59]
	v_fma_f64 v[58:59], v[157:158], v[16:17], v[127:128]
	v_fma_f64 v[16:17], v[159:160], v[16:17], -v[18:19]
	v_fma_f64 v[30:31], v[143:144], v[28:29], -v[30:31]
	v_fma_f64 v[62:63], v[149:150], v[24:25], v[62:63]
	v_fma_f64 v[143:144], v[151:152], v[24:25], -v[26:27]
	v_fma_f64 v[18:19], v[145:146], v[40:41], v[135:136]
	ds_read_b128 v[22:25], v115
	ds_read_b128 v[26:29], v114
	s_waitcnt lgkmcnt(0)
	v_fma_f64 v[6:7], v[6:7], v[48:49], v[173:174]
	v_fma_f64 v[8:9], v[8:9], v[48:49], -v[50:51]
	v_fma_f64 v[2:3], v[2:3], v[44:45], v[54:55]
	v_fma_f64 v[4:5], v[4:5], v[44:45], -v[46:47]
	v_fma_f64 v[38:39], v[147:148], v[40:41], -v[38:39]
	v_fma_f64 v[40:41], v[78:79], v[32:33], v[42:43]
	v_fma_f64 v[32:33], v[80:81], v[32:33], -v[34:35]
	v_fma_f64 v[10:11], v[10:11], v[68:69], v[139:140]
	v_add_f64 v[44:45], v[165:166], v[125:126]
	v_fma_f64 v[12:13], v[12:13], v[68:69], -v[70:71]
	v_fma_f64 v[34:35], v[82:83], v[64:65], v[141:142]
	v_fma_f64 v[42:43], v[84:85], v[64:65], -v[66:67]
	v_add_f64 v[46:47], v[14:15], v[56:57]
	v_add_f64 v[50:51], v[167:168], v[74:75]
	;; [unrolled: 1-line block ×3, first 2 shown]
	v_add_f64 v[48:49], v[165:166], -v[125:126]
	v_add_f64 v[14:15], v[14:15], -v[56:57]
	;; [unrolled: 1-line block ×4, first 2 shown]
	v_add_f64 v[64:65], v[86:87], v[121:122]
	v_add_f64 v[66:67], v[88:89], v[0:1]
	v_add_f64 v[68:69], v[121:122], -v[86:87]
	v_add_f64 v[0:1], v[0:1], -v[88:89]
	v_add_f64 v[70:71], v[133:134], v[58:59]
	v_add_f64 v[74:75], v[52:53], v[16:17]
	v_add_f64 v[16:17], v[52:53], -v[16:17]
	v_add_f64 v[52:53], v[137:138], v[76:77]
	v_add_f64 v[78:79], v[36:37], v[20:21]
	v_add_f64 v[76:77], v[137:138], -v[76:77]
	v_add_f64 v[20:21], v[36:37], -v[20:21]
	v_add_f64 v[36:37], v[123:124], v[62:63]
	v_add_f64 v[80:81], v[30:31], v[143:144]
	v_add_f64 v[62:63], v[62:63], -v[123:124]
	;; [unrolled: 4-line block ×6, first 2 shown]
	v_add_f64 v[86:87], v[50:51], -v[44:45]
	v_add_f64 v[88:89], v[54:55], -v[46:47]
	;; [unrolled: 1-line block ×6, first 2 shown]
	v_add_f64 v[121:122], v[68:69], v[56:57]
	v_add_f64 v[123:124], v[0:1], v[60:61]
	v_add_f64 v[125:126], v[68:69], -v[56:57]
	v_add_f64 v[127:128], v[0:1], -v[60:61]
	;; [unrolled: 1-line block ×5, first 2 shown]
	v_add_f64 v[0:1], v[52:53], v[70:71]
	v_add_f64 v[135:136], v[78:79], v[74:75]
	;; [unrolled: 1-line block ×4, first 2 shown]
	v_add_f64 v[145:146], v[62:63], -v[76:77]
	v_add_f64 v[147:148], v[30:31], -v[20:21]
	v_add_f64 v[149:150], v[34:35], v[82:83]
	v_add_f64 v[151:152], v[42:43], v[84:85]
	;; [unrolled: 1-line block ×4, first 2 shown]
	v_add_f64 v[76:77], v[76:77], -v[58:59]
	v_add_f64 v[20:21], v[20:21], -v[16:17]
	;; [unrolled: 1-line block ×9, first 2 shown]
	v_add_f64 v[157:158], v[18:19], v[2:3]
	v_add_f64 v[159:160], v[32:33], v[4:5]
	v_add_f64 v[167:168], v[32:33], -v[4:5]
	v_add_f64 v[171:172], v[4:5], -v[8:9]
	v_add_f64 v[48:49], v[121:122], v[48:49]
	v_add_f64 v[14:15], v[123:124], v[14:15]
	v_mul_f64 v[4:5], v[44:45], s[18:19]
	v_mul_f64 v[44:45], v[46:47], s[18:19]
	;; [unrolled: 1-line block ×8, first 2 shown]
	v_add_f64 v[36:37], v[36:37], v[0:1]
	v_add_f64 v[80:81], v[80:81], v[135:136]
	v_add_f64 v[62:63], v[58:59], -v[62:63]
	v_add_f64 v[30:31], v[16:17], -v[30:31]
	;; [unrolled: 1-line block ×8, first 2 shown]
	v_add_f64 v[58:59], v[141:142], v[58:59]
	v_add_f64 v[16:17], v[143:144], v[16:17]
	v_mul_f64 v[141:142], v[145:146], s[26:27]
	v_mul_f64 v[143:144], v[147:148], s[26:27]
	v_add_f64 v[149:150], v[10:11], v[149:150]
	v_add_f64 v[12:13], v[12:13], v[151:152]
	v_add_f64 v[169:170], v[2:3], -v[6:7]
	v_add_f64 v[34:35], v[10:11], -v[34:35]
	v_add_f64 v[0:1], v[129:130], v[38:39]
	v_add_f64 v[2:3], v[131:132], v[40:41]
	v_mul_f64 v[145:146], v[76:77], s[8:9]
	v_mul_f64 v[147:148], v[20:21], s[8:9]
	v_add_f64 v[18:19], v[6:7], -v[18:19]
	v_mul_f64 v[70:71], v[70:71], s[18:19]
	v_mul_f64 v[74:75], v[74:75], s[18:19]
	v_add_f64 v[151:152], v[157:158], v[6:7]
	v_fma_f64 v[50:51], v[50:51], s[6:7], v[4:5]
	v_fma_f64 v[54:55], v[54:55], s[6:7], v[44:45]
	v_fma_f64 v[46:47], v[86:87], s[16:17], -v[46:47]
	v_fma_f64 v[64:65], v[88:89], s[16:17], -v[64:65]
	;; [unrolled: 1-line block ×4, first 2 shown]
	v_fma_f64 v[88:89], v[68:69], s[22:23], v[66:67]
	v_fma_f64 v[129:130], v[133:134], s[22:23], v[121:122]
	v_fma_f64 v[56:57], v[56:57], s[8:9], -v[66:67]
	v_fma_f64 v[60:61], v[60:61], s[8:9], -v[121:122]
	;; [unrolled: 1-line block ×4, first 2 shown]
	v_add_f64 v[4:5], v[22:23], v[36:37]
	v_add_f64 v[6:7], v[24:25], v[80:81]
	v_mul_f64 v[127:128], v[52:53], s[6:7]
	v_mul_f64 v[135:136], v[78:79], s[6:7]
	v_add_f64 v[32:33], v[8:9], -v[32:33]
	v_add_f64 v[157:158], v[159:160], v[8:9]
	v_mul_f64 v[82:83], v[82:83], s[18:19]
	v_mul_f64 v[84:85], v[84:85], s[18:19]
	;; [unrolled: 1-line block ×4, first 2 shown]
	v_fma_f64 v[121:122], v[62:63], s[22:23], v[141:142]
	v_fma_f64 v[20:21], v[20:21], s[8:9], -v[143:144]
	v_add_f64 v[8:9], v[26:27], v[149:150]
	v_add_f64 v[10:11], v[28:29], v[12:13]
	v_mul_f64 v[175:176], v[169:170], s[8:9]
	v_mul_f64 v[177:178], v[171:172], s[8:9]
	;; [unrolled: 1-line block ×4, first 2 shown]
	v_fma_f64 v[38:39], v[38:39], s[4:5], v[0:1]
	v_fma_f64 v[40:41], v[40:41], s[4:5], v[2:3]
	v_fma_f64 v[123:124], v[30:31], s[22:23], v[143:144]
	v_fma_f64 v[76:77], v[76:77], s[8:9], -v[141:142]
	v_fma_f64 v[62:63], v[62:63], s[24:25], -v[145:146]
	;; [unrolled: 1-line block ×3, first 2 shown]
	v_fma_f64 v[22:23], v[52:53], s[6:7], v[70:71]
	v_fma_f64 v[24:25], v[78:79], s[6:7], v[74:75]
	;; [unrolled: 1-line block ×10, first 2 shown]
	v_fma_f64 v[70:71], v[137:138], s[20:21], -v[70:71]
	v_fma_f64 v[74:75], v[139:140], s[20:21], -v[74:75]
	;; [unrolled: 1-line block ×4, first 2 shown]
	v_fma_f64 v[26:27], v[34:35], s[6:7], v[82:83]
	v_fma_f64 v[28:29], v[42:43], s[6:7], v[84:85]
	;; [unrolled: 1-line block ×8, first 2 shown]
	v_fma_f64 v[82:83], v[153:154], s[20:21], -v[82:83]
	v_fma_f64 v[84:85], v[155:156], s[20:21], -v[84:85]
	;; [unrolled: 1-line block ×8, first 2 shown]
	v_add_f64 v[50:51], v[50:51], v[38:39]
	v_add_f64 v[54:55], v[54:55], v[40:41]
	v_fma_f64 v[76:77], v[58:59], s[14:15], v[76:77]
	v_fma_f64 v[58:59], v[58:59], s[14:15], v[62:63]
	;; [unrolled: 1-line block ×3, first 2 shown]
	v_add_f64 v[30:31], v[86:87], v[38:39]
	v_add_f64 v[44:45], v[44:45], v[40:41]
	;; [unrolled: 1-line block ×4, first 2 shown]
	v_fma_f64 v[80:81], v[16:17], s[14:15], v[123:124]
	v_add_f64 v[64:65], v[22:23], v[14:15]
	v_add_f64 v[135:136], v[24:25], v[36:37]
	;; [unrolled: 1-line block ×6, first 2 shown]
	v_fma_f64 v[123:124], v[151:152], s[14:15], v[125:126]
	v_fma_f64 v[125:126], v[157:158], s[14:15], v[127:128]
	v_add_f64 v[137:138], v[26:27], v[20:21]
	v_add_f64 v[139:140], v[28:29], v[12:13]
	v_fma_f64 v[86:87], v[151:152], s[14:15], v[131:132]
	v_fma_f64 v[127:128], v[157:158], s[14:15], v[133:134]
	;; [unrolled: 1-line block ×4, first 2 shown]
	v_add_f64 v[82:83], v[82:83], v[20:21]
	v_add_f64 v[84:85], v[84:85], v[12:13]
	;; [unrolled: 1-line block ×5, first 2 shown]
	v_add_f64 v[14:15], v[54:55], -v[88:89]
	v_add_f64 v[16:17], v[66:67], v[30:31]
	v_add_f64 v[18:19], v[44:45], -v[48:49]
	v_add_f64 v[20:21], v[38:39], -v[60:61]
	v_add_f64 v[22:23], v[56:57], v[40:41]
	v_add_f64 v[24:25], v[60:61], v[38:39]
	v_add_f64 v[26:27], v[40:41], -v[56:57]
	v_add_f64 v[28:29], v[30:31], -v[66:67]
	v_add_f64 v[30:31], v[48:49], v[44:45]
	v_add_f64 v[32:33], v[50:51], -v[129:130]
	v_add_f64 v[34:35], v[88:89], v[54:55]
	v_add_f64 v[36:37], v[80:81], v[64:65]
	v_add_f64 v[38:39], v[135:136], -v[68:69]
	v_add_f64 v[40:41], v[62:63], v[70:71]
	v_add_f64 v[42:43], v[74:75], -v[58:59]
	v_add_f64 v[44:45], v[52:53], -v[121:122]
	v_add_f64 v[46:47], v[76:77], v[78:79]
	v_add_f64 v[48:49], v[121:122], v[52:53]
	v_add_f64 v[50:51], v[78:79], -v[76:77]
	v_add_f64 v[52:53], v[70:71], -v[62:63]
	v_add_f64 v[54:55], v[58:59], v[74:75]
	v_add_f64 v[56:57], v[64:65], -v[80:81]
	v_add_f64 v[58:59], v[68:69], v[135:136]
	v_add_f64 v[60:61], v[125:126], v[137:138]
	v_add_f64 v[62:63], v[139:140], -v[123:124]
	v_add_f64 v[64:65], v[133:134], v[82:83]
	v_add_f64 v[66:67], v[84:85], -v[131:132]
	v_add_f64 v[68:69], v[141:142], -v[127:128]
	v_add_f64 v[70:71], v[86:87], v[143:144]
	v_add_f64 v[74:75], v[127:128], v[141:142]
	v_add_f64 v[76:77], v[143:144], -v[86:87]
	v_add_f64 v[78:79], v[82:83], -v[133:134]
	v_add_f64 v[80:81], v[131:132], v[84:85]
	v_add_f64 v[82:83], v[137:138], -v[125:126]
	v_add_f64 v[84:85], v[123:124], v[139:140]
	s_barrier
	buffer_gl0_inv
	ds_write_b128 v99, v[0:3]
	ds_write_b128 v99, v[12:15] offset:384
	ds_write_b128 v99, v[16:19] offset:768
	ds_write_b128 v99, v[20:23] offset:1152
	ds_write_b128 v99, v[24:27] offset:1536
	ds_write_b128 v99, v[28:31] offset:1920
	ds_write_b128 v99, v[32:35] offset:2304
	ds_write_b128 v110, v[4:7]
	ds_write_b128 v110, v[36:39] offset:384
	ds_write_b128 v110, v[40:43] offset:768
	ds_write_b128 v110, v[44:47] offset:1152
	ds_write_b128 v110, v[48:51] offset:1536
	ds_write_b128 v110, v[52:55] offset:1920
	ds_write_b128 v110, v[56:59] offset:2304
	;; [unrolled: 7-line block ×3, first 2 shown]
	s_waitcnt lgkmcnt(0)
	s_barrier
	buffer_gl0_inv
	s_clause 0x2
	global_load_dwordx4 v[4:7], v[163:164], off offset:608
	global_load_dwordx4 v[8:11], v[161:162], off offset:32
	;; [unrolled: 1-line block ×3, first 2 shown]
	v_add_co_u32 v28, s1, s12, v90
	v_add_co_ci_u32_e64 v29, s1, s13, v91, s1
	v_add_co_u32 v2, s1, 0xaa0, v185
	v_add_co_ci_u32_e64 v3, s1, 0, v186, s1
	v_add_co_u32 v40, s1, 0xa60, v28
	s_clause 0x1
	global_load_dwordx4 v[16:19], v[161:162], off offset:48
	global_load_dwordx4 v[20:23], v[163:164], off offset:672
	v_add_co_ci_u32_e64 v41, s1, 0, v29, s1
	v_add_co_u32 v44, s1, 0x800, v28
	v_lshlrev_b64 v[0:1], 4, v[72:73]
	v_add_co_ci_u32_e64 v45, s1, 0, v29, s1
	global_load_dwordx4 v[24:27], v[2:3], off offset:16
	v_add_co_u32 v2, s1, 0xaa0, v28
	v_add_co_ci_u32_e64 v3, s1, 0, v29, s1
	s_clause 0x2
	global_load_dwordx4 v[28:31], v[44:45], off offset:608
	global_load_dwordx4 v[32:35], v[40:41], off offset:32
	;; [unrolled: 1-line block ×3, first 2 shown]
	v_add_co_u32 v68, s1, s12, v0
	v_add_co_ci_u32_e64 v69, s1, s13, v1, s1
	global_load_dwordx4 v[40:43], v[40:41], off offset:48
	v_add_co_u32 v0, s1, 0x800, v68
	v_add_co_ci_u32_e64 v1, s1, 0, v69, s1
	s_clause 0x1
	global_load_dwordx4 v[44:47], v[44:45], off offset:672
	global_load_dwordx4 v[48:51], v[2:3], off offset:16
	v_add_co_u32 v2, s1, 0xa60, v68
	v_add_co_ci_u32_e64 v3, s1, 0, v69, s1
	s_clause 0x3
	global_load_dwordx4 v[52:55], v[0:1], off offset:608
	global_load_dwordx4 v[56:59], v[2:3], off offset:16
	;; [unrolled: 1-line block ×4, first 2 shown]
	v_add_co_u32 v2, s1, 0xaa0, v68
	v_add_co_ci_u32_e64 v3, s1, 0, v69, s1
	s_clause 0x1
	global_load_dwordx4 v[68:71], v[0:1], off offset:672
	global_load_dwordx4 v[74:77], v[2:3], off offset:16
	ds_read_b128 v[78:81], v113
	ds_read_b128 v[82:85], v119
	ds_read_b128 v[86:89], v116
	ds_read_b128 v[121:124], v102 offset:10752
	ds_read_b128 v[125:128], v102 offset:13440
	;; [unrolled: 1-line block ×3, first 2 shown]
	ds_read_b128 v[0:3], v102
	ds_read_b128 v[133:136], v102 offset:3584
	ds_read_b128 v[137:140], v102 offset:14336
	;; [unrolled: 1-line block ×10, first 2 shown]
	s_waitcnt vmcnt(16) lgkmcnt(14)
	v_mul_f64 v[175:176], v[88:89], v[10:11]
	v_mul_f64 v[90:91], v[80:81], v[6:7]
	;; [unrolled: 1-line block ×3, first 2 shown]
	s_waitcnt vmcnt(15)
	v_mul_f64 v[173:174], v[84:85], v[14:15]
	v_mul_f64 v[14:15], v[82:83], v[14:15]
	;; [unrolled: 1-line block ×3, first 2 shown]
	s_waitcnt vmcnt(14) lgkmcnt(13)
	v_mul_f64 v[177:178], v[123:124], v[18:19]
	v_mul_f64 v[18:19], v[121:122], v[18:19]
	s_waitcnt vmcnt(13) lgkmcnt(12)
	v_mul_f64 v[179:180], v[127:128], v[22:23]
	v_mul_f64 v[22:23], v[125:126], v[22:23]
	s_waitcnt vmcnt(12) lgkmcnt(11)
	v_mul_f64 v[183:184], v[131:132], v[26:27]
	v_fma_f64 v[86:87], v[86:87], v[8:9], v[175:176]
	v_fma_f64 v[90:91], v[78:79], v[4:5], v[90:91]
	v_fma_f64 v[181:182], v[80:81], v[4:5], -v[6:7]
	ds_read_b128 v[4:7], v102 offset:17024
	ds_read_b128 v[78:81], v102 offset:17920
	v_fma_f64 v[82:83], v[82:83], v[12:13], v[173:174]
	v_fma_f64 v[84:85], v[84:85], v[12:13], -v[14:15]
	v_mul_f64 v[12:13], v[129:130], v[26:27]
	s_waitcnt vmcnt(11) lgkmcnt(11)
	v_mul_f64 v[14:15], v[135:136], v[30:31]
	v_mul_f64 v[26:27], v[133:134], v[30:31]
	s_waitcnt vmcnt(9) lgkmcnt(9)
	v_mul_f64 v[30:31], v[143:144], v[38:39]
	v_fma_f64 v[88:89], v[88:89], v[8:9], -v[10:11]
	v_mul_f64 v[8:9], v[141:142], v[38:39]
	s_waitcnt lgkmcnt(7)
	v_mul_f64 v[10:11], v[151:152], v[34:35]
	v_mul_f64 v[34:35], v[149:150], v[34:35]
	s_waitcnt vmcnt(8) lgkmcnt(4)
	v_mul_f64 v[38:39], v[163:164], v[42:43]
	v_fma_f64 v[121:122], v[121:122], v[16:17], v[177:178]
	v_fma_f64 v[16:17], v[123:124], v[16:17], -v[18:19]
	v_mul_f64 v[18:19], v[161:162], v[42:43]
	s_waitcnt vmcnt(7)
	v_mul_f64 v[42:43], v[139:140], v[46:47]
	v_mul_f64 v[46:47], v[137:138], v[46:47]
	v_fma_f64 v[125:126], v[125:126], v[20:21], v[179:180]
	v_fma_f64 v[20:21], v[127:128], v[20:21], -v[22:23]
	s_waitcnt vmcnt(6) lgkmcnt(1)
	v_mul_f64 v[123:124], v[6:7], v[50:51]
	v_mul_f64 v[22:23], v[4:5], v[50:51]
	s_waitcnt vmcnt(5)
	v_mul_f64 v[50:51], v[147:148], v[54:55]
	v_mul_f64 v[54:55], v[145:146], v[54:55]
	s_waitcnt vmcnt(4)
	v_mul_f64 v[127:128], v[155:156], v[58:59]
	v_fma_f64 v[129:130], v[129:130], v[24:25], v[183:184]
	v_fma_f64 v[24:25], v[131:132], v[24:25], -v[12:13]
	v_mul_f64 v[58:59], v[153:154], v[58:59]
	s_waitcnt vmcnt(3)
	v_mul_f64 v[131:132], v[159:160], v[62:63]
	v_mul_f64 v[62:63], v[157:158], v[62:63]
	s_waitcnt vmcnt(2)
	v_mul_f64 v[173:174], v[167:168], v[66:67]
	v_fma_f64 v[133:134], v[133:134], v[28:29], v[14:15]
	v_fma_f64 v[26:27], v[135:136], v[28:29], -v[26:27]
	v_mul_f64 v[28:29], v[165:166], v[66:67]
	s_waitcnt vmcnt(1)
	v_mul_f64 v[66:67], v[171:172], v[70:71]
	v_mul_f64 v[70:71], v[169:170], v[70:71]
	s_waitcnt vmcnt(0) lgkmcnt(0)
	v_mul_f64 v[135:136], v[80:81], v[76:77]
	v_mul_f64 v[76:77], v[78:79], v[76:77]
	v_fma_f64 v[30:31], v[141:142], v[36:37], v[30:31]
	v_fma_f64 v[36:37], v[143:144], v[36:37], -v[8:9]
	v_fma_f64 v[141:142], v[149:150], v[32:33], v[10:11]
	v_fma_f64 v[32:33], v[151:152], v[32:33], -v[34:35]
	;; [unrolled: 2-line block ×11, first 2 shown]
	v_add_f64 v[62:63], v[90:91], v[129:130]
	v_add_f64 v[64:65], v[181:182], v[24:25]
	;; [unrolled: 1-line block ×4, first 2 shown]
	v_add_f64 v[66:67], v[90:91], -v[129:130]
	v_add_f64 v[24:25], v[181:182], -v[24:25]
	;; [unrolled: 1-line block ×4, first 2 shown]
	v_add_f64 v[76:77], v[86:87], v[121:122]
	v_add_f64 v[78:79], v[88:89], v[16:17]
	v_add_f64 v[80:81], v[121:122], -v[86:87]
	v_add_f64 v[16:17], v[16:17], -v[88:89]
	v_add_f64 v[82:83], v[133:134], v[4:5]
	v_add_f64 v[84:85], v[26:27], v[6:7]
	v_add_f64 v[6:7], v[26:27], -v[6:7]
	v_add_f64 v[26:27], v[30:31], v[38:39]
	v_add_f64 v[86:87], v[36:37], v[40:41]
	v_add_f64 v[30:31], v[30:31], -v[38:39]
	v_add_f64 v[36:37], v[36:37], -v[40:41]
	v_add_f64 v[38:39], v[141:142], v[34:35]
	v_add_f64 v[40:41], v[32:33], v[18:19]
	v_add_f64 v[34:35], v[34:35], -v[141:142]
	;; [unrolled: 4-line block ×4, first 2 shown]
	v_add_f64 v[44:45], v[44:45], -v[54:55]
	v_add_f64 v[46:47], v[46:47], -v[56:57]
	v_add_f64 v[54:55], v[48:49], v[52:53]
	v_add_f64 v[56:57], v[50:51], v[28:29]
	v_add_f64 v[48:49], v[52:53], -v[48:49]
	v_add_f64 v[28:29], v[28:29], -v[50:51]
	v_add_f64 v[50:51], v[68:69], v[62:63]
	v_add_f64 v[52:53], v[70:71], v[64:65]
	v_add_f64 v[90:91], v[68:69], -v[62:63]
	v_add_f64 v[121:122], v[70:71], -v[64:65]
	;; [unrolled: 1-line block ×6, first 2 shown]
	v_add_f64 v[123:124], v[80:81], v[74:75]
	v_add_f64 v[125:126], v[16:17], v[20:21]
	v_add_f64 v[127:128], v[80:81], -v[74:75]
	v_add_f64 v[129:130], v[16:17], -v[20:21]
	;; [unrolled: 1-line block ×4, first 2 shown]
	v_add_f64 v[131:132], v[26:27], v[82:83]
	v_add_f64 v[133:134], v[86:87], v[84:85]
	v_add_f64 v[143:144], v[34:35], -v[30:31]
	v_add_f64 v[147:148], v[58:59], v[32:33]
	v_add_f64 v[149:150], v[60:61], v[88:89]
	;; [unrolled: 1-line block ×3, first 2 shown]
	v_add_f64 v[145:146], v[18:19], -v[36:37]
	v_add_f64 v[30:31], v[30:31], -v[4:5]
	v_add_f64 v[50:51], v[76:77], v[50:51]
	v_add_f64 v[52:53], v[78:79], v[52:53]
	v_add_f64 v[80:81], v[66:67], -v[80:81]
	v_add_f64 v[16:17], v[24:25], -v[16:17]
	;; [unrolled: 1-line block ×8, first 2 shown]
	v_add_f64 v[141:142], v[18:19], v[36:37]
	v_add_f64 v[66:67], v[123:124], v[66:67]
	v_add_f64 v[24:25], v[125:126], v[24:25]
	v_mul_f64 v[62:63], v[62:63], s[18:19]
	v_mul_f64 v[64:65], v[64:65], s[18:19]
	;; [unrolled: 1-line block ×8, first 2 shown]
	v_add_f64 v[38:39], v[38:39], v[131:132]
	v_add_f64 v[40:41], v[40:41], v[133:134]
	v_add_f64 v[36:37], v[36:37], -v[6:7]
	v_add_f64 v[155:156], v[48:49], v[44:45]
	v_add_f64 v[159:160], v[48:49], -v[44:45]
	v_add_f64 v[44:45], v[44:45], -v[22:23]
	ds_read_b128 v[8:11], v115
	ds_read_b128 v[12:15], v114
	v_add_f64 v[151:152], v[58:59], -v[32:33]
	v_add_f64 v[153:154], v[60:61], -v[88:89]
	;; [unrolled: 1-line block ×6, first 2 shown]
	v_add_f64 v[157:158], v[28:29], v[46:47]
	v_add_f64 v[161:162], v[28:29], -v[46:47]
	v_mul_f64 v[143:144], v[143:144], s[26:27]
	v_add_f64 v[54:55], v[54:55], v[147:148]
	v_add_f64 v[56:57], v[56:57], v[149:150]
	v_add_f64 v[46:47], v[46:47], -v[42:43]
	v_add_f64 v[34:35], v[4:5], -v[34:35]
	v_mul_f64 v[145:146], v[145:146], s[26:27]
	v_mul_f64 v[163:164], v[30:31], s[8:9]
	v_add_f64 v[0:1], v[0:1], v[50:51]
	v_add_f64 v[2:3], v[2:3], v[52:53]
	v_add_f64 v[18:19], v[6:7], -v[18:19]
	v_add_f64 v[131:132], v[139:140], v[4:5]
	v_add_f64 v[133:134], v[141:142], v[6:7]
	v_mul_f64 v[82:83], v[82:83], s[18:19]
	v_mul_f64 v[84:85], v[84:85], s[18:19]
	;; [unrolled: 1-line block ×3, first 2 shown]
	v_fma_f64 v[68:69], v[68:69], s[6:7], v[62:63]
	v_fma_f64 v[70:71], v[70:71], s[6:7], v[64:65]
	v_fma_f64 v[76:77], v[90:91], s[16:17], -v[76:77]
	v_fma_f64 v[78:79], v[121:122], s[16:17], -v[78:79]
	v_fma_f64 v[62:63], v[90:91], s[20:21], -v[62:63]
	v_fma_f64 v[64:65], v[121:122], s[20:21], -v[64:65]
	v_fma_f64 v[90:91], v[80:81], s[22:23], v[123:124]
	v_fma_f64 v[121:122], v[16:17], s[22:23], v[125:126]
	v_fma_f64 v[74:75], v[74:75], s[8:9], -v[123:124]
	v_fma_f64 v[20:21], v[20:21], s[8:9], -v[125:126]
	;; [unrolled: 1-line block ×4, first 2 shown]
	s_waitcnt lgkmcnt(1)
	v_add_f64 v[4:5], v[8:9], v[38:39]
	v_add_f64 v[6:7], v[10:11], v[40:41]
	v_mul_f64 v[165:166], v[36:37], s[8:9]
	v_add_f64 v[48:49], v[22:23], -v[48:49]
	v_mul_f64 v[141:142], v[86:87], s[6:7]
	v_add_f64 v[22:23], v[155:156], v[22:23]
	v_mul_f64 v[155:156], v[159:160], s[26:27]
	v_mul_f64 v[159:160], v[44:45], s[8:9]
	v_add_f64 v[28:29], v[42:43], -v[28:29]
	v_add_f64 v[42:43], v[157:158], v[42:43]
	v_mul_f64 v[32:33], v[32:33], s[18:19]
	v_mul_f64 v[88:89], v[88:89], s[18:19]
	;; [unrolled: 1-line block ×3, first 2 shown]
	v_fma_f64 v[30:31], v[30:31], s[8:9], -v[143:144]
	s_waitcnt lgkmcnt(0)
	v_add_f64 v[8:9], v[12:13], v[54:55]
	v_add_f64 v[10:11], v[14:15], v[56:57]
	v_mul_f64 v[161:162], v[46:47], s[8:9]
	v_mul_f64 v[147:148], v[58:59], s[6:7]
	;; [unrolled: 1-line block ×3, first 2 shown]
	v_fma_f64 v[127:128], v[34:35], s[22:23], v[143:144]
	v_fma_f64 v[36:37], v[36:37], s[8:9], -v[145:146]
	v_fma_f64 v[34:35], v[34:35], s[24:25], -v[163:164]
	v_fma_f64 v[50:51], v[50:51], s[4:5], v[0:1]
	v_fma_f64 v[52:53], v[52:53], s[4:5], v[2:3]
	;; [unrolled: 1-line block ×4, first 2 shown]
	v_fma_f64 v[123:124], v[135:136], s[16:17], -v[139:140]
	v_fma_f64 v[129:130], v[18:19], s[22:23], v[145:146]
	v_fma_f64 v[90:91], v[66:67], s[14:15], v[90:91]
	;; [unrolled: 1-line block ×8, first 2 shown]
	v_fma_f64 v[82:83], v[135:136], s[20:21], -v[82:83]
	v_fma_f64 v[84:85], v[137:138], s[20:21], -v[84:85]
	;; [unrolled: 1-line block ×4, first 2 shown]
	v_fma_f64 v[135:136], v[48:49], s[22:23], v[155:156]
	v_fma_f64 v[48:49], v[48:49], s[24:25], -v[159:160]
	v_fma_f64 v[12:13], v[58:59], s[6:7], v[32:33]
	v_fma_f64 v[14:15], v[60:61], s[6:7], v[88:89]
	;; [unrolled: 1-line block ×7, first 2 shown]
	v_fma_f64 v[32:33], v[151:152], s[20:21], -v[32:33]
	v_fma_f64 v[88:89], v[153:154], s[20:21], -v[88:89]
	v_fma_f64 v[28:29], v[28:29], s[24:25], -v[161:162]
	v_fma_f64 v[58:59], v[151:152], s[16:17], -v[147:148]
	v_fma_f64 v[60:61], v[153:154], s[16:17], -v[149:150]
	v_fma_f64 v[44:45], v[44:45], s[8:9], -v[155:156]
	v_fma_f64 v[46:47], v[46:47], s[8:9], -v[157:158]
	v_fma_f64 v[143:144], v[133:134], s[14:15], v[36:37]
	v_fma_f64 v[54:55], v[131:132], s[14:15], v[34:35]
	v_add_f64 v[34:35], v[68:69], v[50:51]
	v_add_f64 v[36:37], v[70:71], v[52:53]
	;; [unrolled: 1-line block ×6, first 2 shown]
	v_fma_f64 v[127:128], v[131:132], s[14:15], v[127:128]
	v_fma_f64 v[129:130], v[133:134], s[14:15], v[129:130]
	v_add_f64 v[62:63], v[26:27], v[16:17]
	v_add_f64 v[64:65], v[86:87], v[20:21]
	v_fma_f64 v[56:57], v[133:134], s[14:15], v[18:19]
	v_add_f64 v[70:71], v[82:83], v[16:17]
	v_add_f64 v[82:83], v[84:85], v[20:21]
	v_fma_f64 v[131:132], v[22:23], s[14:15], v[135:136]
	v_fma_f64 v[135:136], v[22:23], s[14:15], v[48:49]
	v_add_f64 v[48:49], v[123:124], v[16:17]
	v_add_f64 v[68:69], v[125:126], v[20:21]
	v_fma_f64 v[133:134], v[42:43], s[14:15], v[137:138]
	v_add_f64 v[84:85], v[12:13], v[24:25]
	v_add_f64 v[86:87], v[14:15], v[30:31]
	;; [unrolled: 3-line block ×3, first 2 shown]
	v_fma_f64 v[76:77], v[22:23], s[14:15], v[44:45]
	v_fma_f64 v[78:79], v[42:43], s[14:15], v[46:47]
	v_add_f64 v[123:124], v[58:59], v[24:25]
	v_add_f64 v[125:126], v[60:61], v[30:31]
	;; [unrolled: 1-line block ×3, first 2 shown]
	v_add_f64 v[14:15], v[36:37], -v[90:91]
	v_add_f64 v[16:17], v[80:81], v[38:39]
	v_add_f64 v[18:19], v[40:41], -v[66:67]
	v_add_f64 v[20:21], v[50:51], -v[139:140]
	v_add_f64 v[22:23], v[74:75], v[52:53]
	v_add_f64 v[24:25], v[139:140], v[50:51]
	v_add_f64 v[26:27], v[52:53], -v[74:75]
	v_add_f64 v[28:29], v[38:39], -v[80:81]
	v_add_f64 v[30:31], v[66:67], v[40:41]
	v_add_f64 v[32:33], v[34:35], -v[121:122]
	v_add_f64 v[34:35], v[90:91], v[36:37]
	v_add_f64 v[36:37], v[129:130], v[62:63]
	v_add_f64 v[38:39], v[64:65], -v[127:128]
	v_add_f64 v[40:41], v[56:57], v[70:71]
	v_add_f64 v[42:43], v[82:83], -v[54:55]
	v_add_f64 v[44:45], v[48:49], -v[143:144]
	v_add_f64 v[46:47], v[141:142], v[68:69]
	v_add_f64 v[48:49], v[143:144], v[48:49]
	v_add_f64 v[50:51], v[68:69], -v[141:142]
	v_add_f64 v[52:53], v[70:71], -v[56:57]
	v_add_f64 v[54:55], v[54:55], v[82:83]
	v_add_f64 v[56:57], v[62:63], -v[129:130]
	v_add_f64 v[58:59], v[127:128], v[64:65]
	v_add_f64 v[60:61], v[133:134], v[84:85]
	v_add_f64 v[62:63], v[86:87], -v[131:132]
	v_add_f64 v[64:65], v[137:138], v[145:146]
	v_add_f64 v[66:67], v[88:89], -v[135:136]
	v_add_f64 v[68:69], v[123:124], -v[78:79]
	v_add_f64 v[70:71], v[76:77], v[125:126]
	v_add_f64 v[74:75], v[78:79], v[123:124]
	v_add_f64 v[76:77], v[125:126], -v[76:77]
	v_add_f64 v[78:79], v[145:146], -v[137:138]
	v_add_f64 v[80:81], v[135:136], v[88:89]
	v_add_f64 v[82:83], v[84:85], -v[133:134]
	v_add_f64 v[84:85], v[131:132], v[86:87]
	s_barrier
	buffer_gl0_inv
	ds_write_b128 v102, v[0:3]
	ds_write_b128 v102, v[12:15] offset:2688
	ds_write_b128 v102, v[16:19] offset:5376
	ds_write_b128 v102, v[20:23] offset:8064
	ds_write_b128 v102, v[24:27] offset:10752
	ds_write_b128 v102, v[28:31] offset:13440
	ds_write_b128 v102, v[32:35] offset:16128
	ds_write_b128 v115, v[4:7]
	ds_write_b128 v115, v[36:39] offset:2688
	ds_write_b128 v115, v[40:43] offset:5376
	ds_write_b128 v115, v[44:47] offset:8064
	ds_write_b128 v115, v[48:51] offset:10752
	ds_write_b128 v115, v[52:55] offset:13440
	ds_write_b128 v115, v[56:59] offset:16128
	;; [unrolled: 7-line block ×3, first 2 shown]
	s_waitcnt lgkmcnt(0)
	s_barrier
	buffer_gl0_inv
	ds_read_b128 v[4:7], v102
	v_sub_nc_u32_e32 v10, 0, v95
	s_add_u32 s4, s12, 0x4960
	s_addc_u32 s5, s13, 0
	s_mov_b32 s6, exec_lo
                                        ; implicit-def: $vgpr2_vgpr3
                                        ; implicit-def: $vgpr8_vgpr9
	v_cmpx_ne_u32_e32 0, v94
	s_xor_b32 s6, exec_lo, s6
	s_cbranch_execz .LBB0_25
; %bb.24:
	v_mov_b32_e32 v95, v73
	v_lshlrev_b64 v[0:1], 4, v[94:95]
	v_add_co_u32 v0, s1, s4, v0
	v_add_co_ci_u32_e64 v1, s1, s5, v1, s1
	global_load_dwordx4 v[11:14], v[0:1], off
	ds_read_b128 v[0:3], v10 offset:18816
	s_waitcnt lgkmcnt(0)
	v_add_f64 v[8:9], v[4:5], -v[0:1]
	v_add_f64 v[15:16], v[6:7], v[2:3]
	v_add_f64 v[2:3], v[6:7], -v[2:3]
	v_add_f64 v[0:1], v[4:5], v[0:1]
	v_mul_f64 v[6:7], v[8:9], 0.5
	v_mul_f64 v[4:5], v[15:16], 0.5
	;; [unrolled: 1-line block ×3, first 2 shown]
	s_waitcnt vmcnt(0)
	v_mul_f64 v[8:9], v[6:7], v[13:14]
	v_fma_f64 v[15:16], v[4:5], v[13:14], v[2:3]
	v_fma_f64 v[2:3], v[4:5], v[13:14], -v[2:3]
	v_fma_f64 v[17:18], v[0:1], 0.5, v[8:9]
	v_fma_f64 v[0:1], v[0:1], 0.5, -v[8:9]
	v_fma_f64 v[8:9], -v[11:12], v[6:7], v[15:16]
	v_fma_f64 v[2:3], -v[11:12], v[6:7], v[2:3]
	v_fma_f64 v[13:14], v[4:5], v[11:12], v[17:18]
	v_fma_f64 v[0:1], -v[4:5], v[11:12], v[0:1]
                                        ; implicit-def: $vgpr4_vgpr5
	ds_write_b64 v102, v[13:14]
.LBB0_25:
	s_andn2_saveexec_b32 s1, s6
	s_cbranch_execz .LBB0_27
; %bb.26:
	v_mov_b32_e32 v15, 0
	s_waitcnt lgkmcnt(0)
	v_add_f64 v[13:14], v[4:5], v[6:7]
	v_add_f64 v[0:1], v[4:5], -v[6:7]
	v_mov_b32_e32 v8, 0
	v_mov_b32_e32 v9, 0
	ds_read_b64 v[11:12], v15 offset:9416
	v_mov_b32_e32 v2, v8
	v_mov_b32_e32 v3, v9
	s_waitcnt lgkmcnt(0)
	v_xor_b32_e32 v12, 0x80000000, v12
	ds_write_b64 v102, v[13:14]
	ds_write_b64 v15, v[11:12] offset:9416
.LBB0_27:
	s_or_b32 exec_lo, exec_lo, s1
	v_mov_b32_e32 v99, 0
	ds_write_b64 v102, v[8:9] offset:8
	ds_write_b128 v10, v[0:3] offset:18816
	s_waitcnt lgkmcnt(2)
	v_lshlrev_b64 v[4:5], 4, v[98:99]
	v_mov_b32_e32 v110, v99
	v_mov_b32_e32 v102, v99
	v_lshlrev_b64 v[11:12], 4, v[109:110]
	v_add_co_u32 v4, s1, s4, v4
	v_add_co_ci_u32_e64 v5, s1, s5, v5, s1
	v_mov_b32_e32 v109, v99
	v_add_co_u32 v11, s1, s4, v11
	global_load_dwordx4 v[4:7], v[4:5], off
	v_add_co_ci_u32_e64 v12, s1, s5, v12, s1
	v_lshlrev_b64 v[8:9], 4, v[108:109]
	v_mov_b32_e32 v108, v99
	global_load_dwordx4 v[11:14], v[11:12], off
	ds_read_b128 v[0:3], v115
	ds_read_b128 v[15:18], v10 offset:17920
	v_add_co_u32 v8, s1, s4, v8
	v_add_co_ci_u32_e64 v9, s1, s5, v9, s1
	global_load_dwordx4 v[19:22], v[8:9], off
	s_waitcnt lgkmcnt(0)
	v_add_f64 v[8:9], v[0:1], -v[15:16]
	v_add_f64 v[23:24], v[2:3], v[17:18]
	v_add_f64 v[2:3], v[2:3], -v[17:18]
	v_add_f64 v[0:1], v[0:1], v[15:16]
	v_mul_f64 v[8:9], v[8:9], 0.5
	v_mul_f64 v[17:18], v[23:24], 0.5
	;; [unrolled: 1-line block ×3, first 2 shown]
	s_waitcnt vmcnt(2)
	v_mul_f64 v[15:16], v[8:9], v[6:7]
	v_fma_f64 v[23:24], v[17:18], v[6:7], v[2:3]
	v_fma_f64 v[6:7], v[17:18], v[6:7], -v[2:3]
	v_fma_f64 v[25:26], v[0:1], 0.5, v[15:16]
	v_fma_f64 v[15:16], v[0:1], 0.5, -v[15:16]
	v_fma_f64 v[2:3], -v[4:5], v[8:9], v[23:24]
	v_fma_f64 v[6:7], -v[4:5], v[8:9], v[6:7]
	v_lshlrev_b64 v[8:9], 4, v[107:108]
	v_mov_b32_e32 v107, v99
	v_add_co_u32 v8, s1, s4, v8
	v_add_co_ci_u32_e64 v9, s1, s5, v9, s1
	v_fma_f64 v[0:1], v[17:18], v[4:5], v[25:26]
	v_fma_f64 v[4:5], -v[17:18], v[4:5], v[15:16]
	ds_write_b128 v115, v[0:3]
	ds_write_b128 v10, v[4:7] offset:17920
	ds_read_b128 v[0:3], v114
	ds_read_b128 v[4:7], v10 offset:17024
	global_load_dwordx4 v[15:18], v[8:9], off
	s_waitcnt lgkmcnt(0)
	v_add_f64 v[8:9], v[0:1], -v[4:5]
	v_add_f64 v[23:24], v[2:3], v[6:7]
	v_add_f64 v[2:3], v[2:3], -v[6:7]
	v_add_f64 v[0:1], v[0:1], v[4:5]
	v_mul_f64 v[6:7], v[8:9], 0.5
	v_mul_f64 v[8:9], v[23:24], 0.5
	v_mul_f64 v[2:3], v[2:3], 0.5
	s_waitcnt vmcnt(2)
	v_mul_f64 v[4:5], v[6:7], v[13:14]
	v_fma_f64 v[23:24], v[8:9], v[13:14], v[2:3]
	v_fma_f64 v[13:14], v[8:9], v[13:14], -v[2:3]
	v_fma_f64 v[25:26], v[0:1], 0.5, v[4:5]
	v_fma_f64 v[4:5], v[0:1], 0.5, -v[4:5]
	v_fma_f64 v[2:3], -v[11:12], v[6:7], v[23:24]
	v_fma_f64 v[6:7], -v[11:12], v[6:7], v[13:14]
	v_fma_f64 v[0:1], v[8:9], v[11:12], v[25:26]
	v_fma_f64 v[4:5], -v[8:9], v[11:12], v[4:5]
	v_lshlrev_b64 v[8:9], 4, v[106:107]
	v_mov_b32_e32 v106, v99
	ds_write_b128 v114, v[0:3]
	ds_write_b128 v10, v[4:7] offset:17024
	v_add_co_u32 v8, s1, s4, v8
	ds_read_b128 v[0:3], v113
	ds_read_b128 v[4:7], v10 offset:16128
	v_add_co_ci_u32_e64 v9, s1, s5, v9, s1
	global_load_dwordx4 v[11:14], v[8:9], off
	s_waitcnt lgkmcnt(0)
	v_add_f64 v[8:9], v[0:1], -v[4:5]
	v_add_f64 v[23:24], v[2:3], v[6:7]
	v_add_f64 v[2:3], v[2:3], -v[6:7]
	v_add_f64 v[0:1], v[0:1], v[4:5]
	v_mul_f64 v[6:7], v[8:9], 0.5
	v_mul_f64 v[8:9], v[23:24], 0.5
	v_mul_f64 v[2:3], v[2:3], 0.5
	s_waitcnt vmcnt(2)
	v_mul_f64 v[4:5], v[6:7], v[21:22]
	v_fma_f64 v[23:24], v[8:9], v[21:22], v[2:3]
	v_fma_f64 v[21:22], v[8:9], v[21:22], -v[2:3]
	v_fma_f64 v[25:26], v[0:1], 0.5, v[4:5]
	v_fma_f64 v[4:5], v[0:1], 0.5, -v[4:5]
	v_fma_f64 v[2:3], -v[19:20], v[6:7], v[23:24]
	v_fma_f64 v[6:7], -v[19:20], v[6:7], v[21:22]
	v_fma_f64 v[0:1], v[8:9], v[19:20], v[25:26]
	v_fma_f64 v[4:5], -v[8:9], v[19:20], v[4:5]
	v_lshlrev_b64 v[8:9], 4, v[105:106]
	v_mov_b32_e32 v105, v99
	ds_write_b128 v113, v[0:3]
	ds_write_b128 v10, v[4:7] offset:16128
	v_add_co_u32 v8, s1, s4, v8
	ds_read_b128 v[0:3], v112
	ds_read_b128 v[4:7], v10 offset:15232
	v_add_co_ci_u32_e64 v9, s1, s5, v9, s1
	;; [unrolled: 27-line block ×3, first 2 shown]
	global_load_dwordx4 v[15:18], v[8:9], off
	s_waitcnt lgkmcnt(0)
	v_add_f64 v[8:9], v[0:1], -v[4:5]
	v_add_f64 v[23:24], v[2:3], v[6:7]
	v_add_f64 v[2:3], v[2:3], -v[6:7]
	v_add_f64 v[0:1], v[0:1], v[4:5]
	v_mul_f64 v[6:7], v[8:9], 0.5
	v_mul_f64 v[8:9], v[23:24], 0.5
	;; [unrolled: 1-line block ×3, first 2 shown]
	s_waitcnt vmcnt(2)
	v_mul_f64 v[4:5], v[6:7], v[13:14]
	v_fma_f64 v[23:24], v[8:9], v[13:14], v[2:3]
	v_fma_f64 v[13:14], v[8:9], v[13:14], -v[2:3]
	v_fma_f64 v[25:26], v[0:1], 0.5, v[4:5]
	v_fma_f64 v[4:5], v[0:1], 0.5, -v[4:5]
	v_fma_f64 v[2:3], -v[11:12], v[6:7], v[23:24]
	v_fma_f64 v[6:7], -v[11:12], v[6:7], v[13:14]
	v_fma_f64 v[0:1], v[8:9], v[11:12], v[25:26]
	v_fma_f64 v[4:5], -v[8:9], v[11:12], v[4:5]
	v_lshlrev_b64 v[8:9], 4, v[101:102]
	ds_write_b128 v120, v[0:3]
	ds_write_b128 v10, v[4:7] offset:14336
	v_add_co_u32 v8, s1, s4, v8
	ds_read_b128 v[0:3], v119
	ds_read_b128 v[4:7], v10 offset:13440
	v_add_co_ci_u32_e64 v9, s1, s5, v9, s1
	global_load_dwordx4 v[11:14], v[8:9], off
	s_waitcnt lgkmcnt(0)
	v_add_f64 v[8:9], v[0:1], -v[4:5]
	v_add_f64 v[23:24], v[2:3], v[6:7]
	v_add_f64 v[2:3], v[2:3], -v[6:7]
	v_add_f64 v[0:1], v[0:1], v[4:5]
	v_mul_f64 v[6:7], v[8:9], 0.5
	v_mul_f64 v[8:9], v[23:24], 0.5
	;; [unrolled: 1-line block ×3, first 2 shown]
	s_waitcnt vmcnt(2)
	v_mul_f64 v[4:5], v[6:7], v[21:22]
	v_fma_f64 v[23:24], v[8:9], v[21:22], v[2:3]
	v_fma_f64 v[21:22], v[8:9], v[21:22], -v[2:3]
	v_fma_f64 v[25:26], v[0:1], 0.5, v[4:5]
	v_fma_f64 v[4:5], v[0:1], 0.5, -v[4:5]
	v_fma_f64 v[2:3], -v[19:20], v[6:7], v[23:24]
	v_fma_f64 v[6:7], -v[19:20], v[6:7], v[21:22]
	v_fma_f64 v[0:1], v[8:9], v[19:20], v[25:26]
	v_fma_f64 v[4:5], -v[8:9], v[19:20], v[4:5]
	v_lshlrev_b64 v[8:9], 4, v[103:104]
	ds_write_b128 v119, v[0:3]
	ds_write_b128 v10, v[4:7] offset:13440
	v_add_co_u32 v8, s1, s4, v8
	ds_read_b128 v[0:3], v118
	ds_read_b128 v[4:7], v10 offset:12544
	v_add_co_ci_u32_e64 v9, s1, s5, v9, s1
	global_load_dwordx4 v[19:22], v[8:9], off
	s_waitcnt lgkmcnt(0)
	v_add_f64 v[8:9], v[0:1], -v[4:5]
	v_add_f64 v[23:24], v[2:3], v[6:7]
	v_add_f64 v[2:3], v[2:3], -v[6:7]
	v_add_f64 v[0:1], v[0:1], v[4:5]
	v_mul_f64 v[6:7], v[8:9], 0.5
	v_mul_f64 v[8:9], v[23:24], 0.5
	;; [unrolled: 1-line block ×3, first 2 shown]
	s_waitcnt vmcnt(2)
	v_mul_f64 v[4:5], v[6:7], v[17:18]
	v_fma_f64 v[23:24], v[8:9], v[17:18], v[2:3]
	v_fma_f64 v[17:18], v[8:9], v[17:18], -v[2:3]
	v_fma_f64 v[25:26], v[0:1], 0.5, v[4:5]
	v_fma_f64 v[4:5], v[0:1], 0.5, -v[4:5]
	v_fma_f64 v[2:3], -v[15:16], v[6:7], v[23:24]
	v_fma_f64 v[6:7], -v[15:16], v[6:7], v[17:18]
	v_fma_f64 v[0:1], v[8:9], v[15:16], v[25:26]
	v_fma_f64 v[4:5], -v[8:9], v[15:16], v[4:5]
	ds_write_b128 v118, v[0:3]
	ds_write_b128 v10, v[4:7] offset:12544
	ds_read_b128 v[0:3], v117
	ds_read_b128 v[4:7], v10 offset:11648
	s_waitcnt lgkmcnt(0)
	v_add_f64 v[8:9], v[0:1], -v[4:5]
	v_add_f64 v[15:16], v[2:3], v[6:7]
	v_add_f64 v[2:3], v[2:3], -v[6:7]
	v_add_f64 v[0:1], v[0:1], v[4:5]
	v_mul_f64 v[6:7], v[8:9], 0.5
	v_mul_f64 v[8:9], v[15:16], 0.5
	;; [unrolled: 1-line block ×3, first 2 shown]
	s_waitcnt vmcnt(1)
	v_mul_f64 v[4:5], v[6:7], v[13:14]
	v_fma_f64 v[15:16], v[8:9], v[13:14], v[2:3]
	v_fma_f64 v[13:14], v[8:9], v[13:14], -v[2:3]
	v_fma_f64 v[17:18], v[0:1], 0.5, v[4:5]
	v_fma_f64 v[4:5], v[0:1], 0.5, -v[4:5]
	v_fma_f64 v[2:3], -v[11:12], v[6:7], v[15:16]
	v_fma_f64 v[6:7], -v[11:12], v[6:7], v[13:14]
	v_fma_f64 v[0:1], v[8:9], v[11:12], v[17:18]
	v_fma_f64 v[4:5], -v[8:9], v[11:12], v[4:5]
	ds_write_b128 v117, v[0:3]
	ds_write_b128 v10, v[4:7] offset:11648
	ds_read_b128 v[0:3], v116
	ds_read_b128 v[4:7], v10 offset:10752
	s_waitcnt lgkmcnt(0)
	v_add_f64 v[8:9], v[0:1], -v[4:5]
	v_add_f64 v[11:12], v[2:3], v[6:7]
	v_add_f64 v[2:3], v[2:3], -v[6:7]
	v_add_f64 v[0:1], v[0:1], v[4:5]
	v_mul_f64 v[6:7], v[8:9], 0.5
	v_mul_f64 v[8:9], v[11:12], 0.5
	;; [unrolled: 1-line block ×3, first 2 shown]
	s_waitcnt vmcnt(0)
	v_mul_f64 v[4:5], v[6:7], v[21:22]
	v_fma_f64 v[11:12], v[8:9], v[21:22], v[2:3]
	v_fma_f64 v[13:14], v[8:9], v[21:22], -v[2:3]
	v_fma_f64 v[15:16], v[0:1], 0.5, v[4:5]
	v_fma_f64 v[4:5], v[0:1], 0.5, -v[4:5]
	v_fma_f64 v[2:3], -v[19:20], v[6:7], v[11:12]
	v_fma_f64 v[6:7], -v[19:20], v[6:7], v[13:14]
	v_fma_f64 v[0:1], v[8:9], v[19:20], v[15:16]
	v_fma_f64 v[4:5], -v[8:9], v[19:20], v[4:5]
	ds_write_b128 v116, v[0:3]
	ds_write_b128 v10, v[4:7] offset:10752
	s_and_saveexec_b32 s1, s0
	s_cbranch_execz .LBB0_29
; %bb.28:
	v_mov_b32_e32 v101, v99
	v_lshlrev_b64 v[0:1], 4, v[100:101]
	v_add_co_u32 v0, s0, s4, v0
	v_add_co_ci_u32_e64 v1, s0, s5, v1, s0
	global_load_dwordx4 v[0:3], v[0:1], off
	ds_read_b128 v[4:7], v111
	ds_read_b128 v[11:14], v10 offset:9856
	s_waitcnt lgkmcnt(0)
	v_add_f64 v[8:9], v[4:5], -v[11:12]
	v_add_f64 v[15:16], v[6:7], v[13:14]
	v_add_f64 v[6:7], v[6:7], -v[13:14]
	v_add_f64 v[4:5], v[4:5], v[11:12]
	v_mul_f64 v[8:9], v[8:9], 0.5
	v_mul_f64 v[13:14], v[15:16], 0.5
	;; [unrolled: 1-line block ×3, first 2 shown]
	s_waitcnt vmcnt(0)
	v_mul_f64 v[11:12], v[8:9], v[2:3]
	v_fma_f64 v[15:16], v[13:14], v[2:3], v[6:7]
	v_fma_f64 v[2:3], v[13:14], v[2:3], -v[6:7]
	v_fma_f64 v[6:7], v[4:5], 0.5, v[11:12]
	v_fma_f64 v[11:12], v[4:5], 0.5, -v[11:12]
	v_fma_f64 v[4:5], -v[0:1], v[8:9], v[15:16]
	v_fma_f64 v[8:9], -v[0:1], v[8:9], v[2:3]
	v_fma_f64 v[2:3], v[13:14], v[0:1], v[6:7]
	v_fma_f64 v[6:7], -v[13:14], v[0:1], v[11:12]
	ds_write_b128 v111, v[2:5]
	ds_write_b128 v10, v[6:9] offset:9856
.LBB0_29:
	s_or_b32 exec_lo, exec_lo, s1
	s_waitcnt lgkmcnt(0)
	s_barrier
	buffer_gl0_inv
	s_and_saveexec_b32 s0, vcc_lo
	s_cbranch_execz .LBB0_32
; %bb.30:
	v_mul_lo_u32 v2, s3, v96
	v_mul_lo_u32 v3, s2, v97
	v_mad_u64_u32 v[0:1], null, s2, v96, 0
	v_mov_b32_e32 v95, 0
	v_lshl_add_u32 v32, v94, 4, 0
	v_lshlrev_b64 v[14:15], 4, v[92:93]
	v_add_nc_u32_e32 v16, 56, v94
	v_add_nc_u32_e32 v18, 0x70, v94
	v_mov_b32_e32 v17, v95
	v_add3_u32 v1, v1, v3, v2
	ds_read_b128 v[2:5], v32
	ds_read_b128 v[6:9], v32 offset:896
	v_lshlrev_b64 v[20:21], 4, v[94:95]
	v_mov_b32_e32 v19, v95
	ds_read_b128 v[10:13], v32 offset:1792
	v_lshlrev_b64 v[0:1], 4, v[0:1]
	v_add_nc_u32_e32 v24, 0xa8, v94
	v_mov_b32_e32 v25, v95
	v_lshlrev_b64 v[18:19], 4, v[18:19]
	v_add_nc_u32_e32 v28, 0x188, v94
	v_mov_b32_e32 v29, v95
	v_add_co_u32 v0, vcc_lo, s10, v0
	v_add_co_ci_u32_e32 v1, vcc_lo, s11, v1, vcc_lo
	v_add_nc_u32_e32 v30, 0x1c0, v94
	v_add_co_u32 v0, vcc_lo, v0, v14
	v_add_co_ci_u32_e32 v1, vcc_lo, v1, v15, vcc_lo
	v_lshlrev_b64 v[14:15], 4, v[16:17]
	v_add_co_u32 v20, vcc_lo, v0, v20
	v_add_co_ci_u32_e32 v21, vcc_lo, v1, v21, vcc_lo
	v_mov_b32_e32 v31, v95
	v_add_co_u32 v22, vcc_lo, v0, v14
	v_add_co_ci_u32_e32 v23, vcc_lo, v1, v15, vcc_lo
	ds_read_b128 v[14:17], v32 offset:2688
	s_waitcnt lgkmcnt(3)
	global_store_dwordx4 v[20:21], v[2:5], off
	s_waitcnt lgkmcnt(2)
	global_store_dwordx4 v[22:23], v[6:9], off
	v_lshlrev_b64 v[2:3], 4, v[24:25]
	v_add_co_u32 v4, vcc_lo, v0, v18
	v_add_co_ci_u32_e32 v5, vcc_lo, v1, v19, vcc_lo
	v_add_nc_u32_e32 v6, 0xe0, v94
	v_add_co_u32 v2, vcc_lo, v0, v2
	v_add_co_ci_u32_e32 v3, vcc_lo, v1, v3, vcc_lo
	v_mov_b32_e32 v7, v95
	s_waitcnt lgkmcnt(1)
	global_store_dwordx4 v[4:5], v[10:13], off
	v_add_nc_u32_e32 v10, 0x118, v94
	v_mov_b32_e32 v11, v95
	v_add_nc_u32_e32 v18, 0x150, v94
	v_mov_b32_e32 v19, v95
	v_lshlrev_b64 v[28:29], 4, v[28:29]
	s_waitcnt lgkmcnt(0)
	global_store_dwordx4 v[2:3], v[14:17], off
	v_lshlrev_b64 v[14:15], 4, v[6:7]
	ds_read_b128 v[2:5], v32 offset:3584
	ds_read_b128 v[6:9], v32 offset:4480
	v_lshlrev_b64 v[16:17], 4, v[10:11]
	ds_read_b128 v[10:13], v32 offset:5376
	v_add_co_u32 v22, vcc_lo, v0, v14
	v_add_co_ci_u32_e32 v23, vcc_lo, v1, v15, vcc_lo
	v_lshlrev_b64 v[14:15], 4, v[18:19]
	v_add_co_u32 v24, vcc_lo, v0, v16
	v_add_co_ci_u32_e32 v25, vcc_lo, v1, v17, vcc_lo
	ds_read_b128 v[18:21], v32 offset:7168
	v_add_co_u32 v26, vcc_lo, v0, v14
	v_add_co_ci_u32_e32 v27, vcc_lo, v1, v15, vcc_lo
	ds_read_b128 v[14:17], v32 offset:6272
	s_waitcnt lgkmcnt(4)
	global_store_dwordx4 v[22:23], v[2:5], off
	s_waitcnt lgkmcnt(3)
	global_store_dwordx4 v[24:25], v[6:9], off
	;; [unrolled: 2-line block ×3, first 2 shown]
	v_lshlrev_b64 v[2:3], 4, v[30:31]
	v_add_co_u32 v4, vcc_lo, v0, v28
	v_add_co_ci_u32_e32 v5, vcc_lo, v1, v29, vcc_lo
	v_add_nc_u32_e32 v8, 0x1f8, v94
	v_add_co_u32 v6, vcc_lo, v0, v2
	v_add_co_ci_u32_e32 v7, vcc_lo, v1, v3, vcc_lo
	v_mov_b32_e32 v9, v95
	v_add_nc_u32_e32 v10, 0x230, v94
	v_mov_b32_e32 v11, v95
	s_waitcnt lgkmcnt(1)
	global_store_dwordx4 v[6:7], v[18:21], off
	v_add_nc_u32_e32 v18, 0x268, v94
	v_mov_b32_e32 v19, v95
	v_add_nc_u32_e32 v26, 0x2a0, v94
	v_mov_b32_e32 v27, v95
	s_waitcnt lgkmcnt(0)
	global_store_dwordx4 v[4:5], v[14:17], off
	v_lshlrev_b64 v[14:15], 4, v[8:9]
	ds_read_b128 v[2:5], v32 offset:8064
	v_lshlrev_b64 v[16:17], 4, v[10:11]
	ds_read_b128 v[6:9], v32 offset:8960
	ds_read_b128 v[10:13], v32 offset:9856
	v_lshlrev_b64 v[18:19], 4, v[18:19]
	v_add_nc_u32_e32 v30, 0x2d8, v94
	v_add_co_u32 v22, vcc_lo, v0, v14
	v_add_co_ci_u32_e32 v23, vcc_lo, v1, v15, vcc_lo
	v_add_co_u32 v24, vcc_lo, v0, v16
	v_add_co_ci_u32_e32 v25, vcc_lo, v1, v17, vcc_lo
	v_add_co_u32 v28, vcc_lo, v0, v18
	ds_read_b128 v[14:17], v32 offset:10752
	v_add_co_ci_u32_e32 v29, vcc_lo, v1, v19, vcc_lo
	ds_read_b128 v[18:21], v32 offset:11648
	v_lshlrev_b64 v[26:27], 4, v[26:27]
	s_waitcnt lgkmcnt(4)
	global_store_dwordx4 v[22:23], v[2:5], off
	s_waitcnt lgkmcnt(3)
	global_store_dwordx4 v[24:25], v[6:9], off
	;; [unrolled: 2-line block ×3, first 2 shown]
	v_lshlrev_b64 v[2:3], 4, v[30:31]
	v_add_nc_u32_e32 v6, 0x310, v94
	v_add_co_u32 v4, vcc_lo, v0, v26
	v_add_co_ci_u32_e32 v5, vcc_lo, v1, v27, vcc_lo
	v_add_co_u32 v2, vcc_lo, v0, v2
	v_add_co_ci_u32_e32 v3, vcc_lo, v1, v3, vcc_lo
	v_mov_b32_e32 v7, v95
	v_add_nc_u32_e32 v10, 0x348, v94
	s_waitcnt lgkmcnt(1)
	global_store_dwordx4 v[4:5], v[14:17], off
	v_mov_b32_e32 v11, v95
	v_add_nc_u32_e32 v24, 0x460, v94
	s_waitcnt lgkmcnt(0)
	global_store_dwordx4 v[2:3], v[18:21], off
	v_lshlrev_b64 v[14:15], 4, v[6:7]
	ds_read_b128 v[2:5], v32 offset:12544
	ds_read_b128 v[6:9], v32 offset:13440
	v_lshlrev_b64 v[16:17], 4, v[10:11]
	ds_read_b128 v[10:13], v32 offset:14336
	v_add_nc_u32_e32 v18, 0x380, v94
	v_mov_b32_e32 v19, v95
	v_add_co_u32 v14, vcc_lo, v0, v14
	v_add_co_ci_u32_e32 v15, vcc_lo, v1, v15, vcc_lo
	v_lshlrev_b64 v[18:19], 4, v[18:19]
	v_add_co_u32 v16, vcc_lo, v0, v16
	v_add_nc_u32_e32 v20, 0x3b8, v94
	v_mov_b32_e32 v21, v95
	v_add_co_ci_u32_e32 v17, vcc_lo, v1, v17, vcc_lo
	v_add_co_u32 v18, vcc_lo, v0, v18
	s_waitcnt lgkmcnt(2)
	global_store_dwordx4 v[14:15], v[2:5], off
	s_waitcnt lgkmcnt(1)
	global_store_dwordx4 v[16:17], v[6:9], off
	v_lshlrev_b64 v[6:7], 4, v[20:21]
	v_add_co_ci_u32_e32 v19, vcc_lo, v1, v19, vcc_lo
	v_add_nc_u32_e32 v8, 0x3f0, v94
	v_mov_b32_e32 v9, v95
	v_add_nc_u32_e32 v14, 0x428, v94
	s_waitcnt lgkmcnt(0)
	global_store_dwordx4 v[18:19], v[10:13], off
	v_mov_b32_e32 v15, v95
	v_add_co_u32 v18, vcc_lo, v0, v6
	ds_read_b128 v[2:5], v32 offset:15232
	v_add_co_ci_u32_e32 v19, vcc_lo, v1, v7, vcc_lo
	v_lshlrev_b64 v[20:21], 4, v[8:9]
	ds_read_b128 v[6:9], v32 offset:16128
	ds_read_b128 v[10:13], v32 offset:17024
	v_mov_b32_e32 v25, v95
	v_lshlrev_b64 v[22:23], 4, v[14:15]
	ds_read_b128 v[14:17], v32 offset:17920
	v_add_co_u32 v20, vcc_lo, v0, v20
	v_lshlrev_b64 v[24:25], 4, v[24:25]
	v_add_co_ci_u32_e32 v21, vcc_lo, v1, v21, vcc_lo
	v_add_co_u32 v22, vcc_lo, v0, v22
	v_add_co_ci_u32_e32 v23, vcc_lo, v1, v23, vcc_lo
	v_add_co_u32 v24, vcc_lo, v0, v24
	v_add_co_ci_u32_e32 v25, vcc_lo, v1, v25, vcc_lo
	v_cmp_eq_u32_e32 vcc_lo, 55, v94
	s_waitcnt lgkmcnt(3)
	global_store_dwordx4 v[18:19], v[2:5], off
	s_waitcnt lgkmcnt(2)
	global_store_dwordx4 v[20:21], v[6:9], off
	;; [unrolled: 2-line block ×4, first 2 shown]
	s_and_b32 exec_lo, exec_lo, vcc_lo
	s_cbranch_execz .LBB0_32
; %bb.31:
	ds_read_b128 v[2:5], v95 offset:18816
	v_add_co_u32 v0, vcc_lo, 0x4800, v0
	v_add_co_ci_u32_e32 v1, vcc_lo, 0, v1, vcc_lo
	s_waitcnt lgkmcnt(0)
	global_store_dwordx4 v[0:1], v[2:5], off offset:384
.LBB0_32:
	s_endpgm
	.section	.rodata,"a",@progbits
	.p2align	6, 0x0
	.amdhsa_kernel fft_rtc_back_len1176_factors_2_2_2_3_7_7_wgs_56_tpt_56_halfLds_dp_op_CI_CI_unitstride_sbrr_R2C_dirReg
		.amdhsa_group_segment_fixed_size 0
		.amdhsa_private_segment_fixed_size 0
		.amdhsa_kernarg_size 104
		.amdhsa_user_sgpr_count 6
		.amdhsa_user_sgpr_private_segment_buffer 1
		.amdhsa_user_sgpr_dispatch_ptr 0
		.amdhsa_user_sgpr_queue_ptr 0
		.amdhsa_user_sgpr_kernarg_segment_ptr 1
		.amdhsa_user_sgpr_dispatch_id 0
		.amdhsa_user_sgpr_flat_scratch_init 0
		.amdhsa_user_sgpr_private_segment_size 0
		.amdhsa_wavefront_size32 1
		.amdhsa_uses_dynamic_stack 0
		.amdhsa_system_sgpr_private_segment_wavefront_offset 0
		.amdhsa_system_sgpr_workgroup_id_x 1
		.amdhsa_system_sgpr_workgroup_id_y 0
		.amdhsa_system_sgpr_workgroup_id_z 0
		.amdhsa_system_sgpr_workgroup_info 0
		.amdhsa_system_vgpr_workitem_id 0
		.amdhsa_next_free_vgpr 188
		.amdhsa_next_free_sgpr 28
		.amdhsa_reserve_vcc 1
		.amdhsa_reserve_flat_scratch 0
		.amdhsa_float_round_mode_32 0
		.amdhsa_float_round_mode_16_64 0
		.amdhsa_float_denorm_mode_32 3
		.amdhsa_float_denorm_mode_16_64 3
		.amdhsa_dx10_clamp 1
		.amdhsa_ieee_mode 1
		.amdhsa_fp16_overflow 0
		.amdhsa_workgroup_processor_mode 1
		.amdhsa_memory_ordered 1
		.amdhsa_forward_progress 0
		.amdhsa_shared_vgpr_count 0
		.amdhsa_exception_fp_ieee_invalid_op 0
		.amdhsa_exception_fp_denorm_src 0
		.amdhsa_exception_fp_ieee_div_zero 0
		.amdhsa_exception_fp_ieee_overflow 0
		.amdhsa_exception_fp_ieee_underflow 0
		.amdhsa_exception_fp_ieee_inexact 0
		.amdhsa_exception_int_div_zero 0
	.end_amdhsa_kernel
	.text
.Lfunc_end0:
	.size	fft_rtc_back_len1176_factors_2_2_2_3_7_7_wgs_56_tpt_56_halfLds_dp_op_CI_CI_unitstride_sbrr_R2C_dirReg, .Lfunc_end0-fft_rtc_back_len1176_factors_2_2_2_3_7_7_wgs_56_tpt_56_halfLds_dp_op_CI_CI_unitstride_sbrr_R2C_dirReg
                                        ; -- End function
	.section	.AMDGPU.csdata,"",@progbits
; Kernel info:
; codeLenInByte = 18136
; NumSgprs: 30
; NumVgprs: 188
; ScratchSize: 0
; MemoryBound: 0
; FloatMode: 240
; IeeeMode: 1
; LDSByteSize: 0 bytes/workgroup (compile time only)
; SGPRBlocks: 3
; VGPRBlocks: 23
; NumSGPRsForWavesPerEU: 30
; NumVGPRsForWavesPerEU: 188
; Occupancy: 5
; WaveLimiterHint : 1
; COMPUTE_PGM_RSRC2:SCRATCH_EN: 0
; COMPUTE_PGM_RSRC2:USER_SGPR: 6
; COMPUTE_PGM_RSRC2:TRAP_HANDLER: 0
; COMPUTE_PGM_RSRC2:TGID_X_EN: 1
; COMPUTE_PGM_RSRC2:TGID_Y_EN: 0
; COMPUTE_PGM_RSRC2:TGID_Z_EN: 0
; COMPUTE_PGM_RSRC2:TIDIG_COMP_CNT: 0
	.text
	.p2alignl 6, 3214868480
	.fill 48, 4, 3214868480
	.type	__hip_cuid_a7bce7f0e6fc1894,@object ; @__hip_cuid_a7bce7f0e6fc1894
	.section	.bss,"aw",@nobits
	.globl	__hip_cuid_a7bce7f0e6fc1894
__hip_cuid_a7bce7f0e6fc1894:
	.byte	0                               ; 0x0
	.size	__hip_cuid_a7bce7f0e6fc1894, 1

	.ident	"AMD clang version 19.0.0git (https://github.com/RadeonOpenCompute/llvm-project roc-6.4.0 25133 c7fe45cf4b819c5991fe208aaa96edf142730f1d)"
	.section	".note.GNU-stack","",@progbits
	.addrsig
	.addrsig_sym __hip_cuid_a7bce7f0e6fc1894
	.amdgpu_metadata
---
amdhsa.kernels:
  - .args:
      - .actual_access:  read_only
        .address_space:  global
        .offset:         0
        .size:           8
        .value_kind:     global_buffer
      - .offset:         8
        .size:           8
        .value_kind:     by_value
      - .actual_access:  read_only
        .address_space:  global
        .offset:         16
        .size:           8
        .value_kind:     global_buffer
      - .actual_access:  read_only
        .address_space:  global
        .offset:         24
        .size:           8
        .value_kind:     global_buffer
      - .actual_access:  read_only
        .address_space:  global
        .offset:         32
        .size:           8
        .value_kind:     global_buffer
      - .offset:         40
        .size:           8
        .value_kind:     by_value
      - .actual_access:  read_only
        .address_space:  global
        .offset:         48
        .size:           8
        .value_kind:     global_buffer
      - .actual_access:  read_only
        .address_space:  global
        .offset:         56
        .size:           8
        .value_kind:     global_buffer
      - .offset:         64
        .size:           4
        .value_kind:     by_value
      - .actual_access:  read_only
        .address_space:  global
        .offset:         72
        .size:           8
        .value_kind:     global_buffer
      - .actual_access:  read_only
        .address_space:  global
        .offset:         80
        .size:           8
        .value_kind:     global_buffer
      - .actual_access:  read_only
        .address_space:  global
        .offset:         88
        .size:           8
        .value_kind:     global_buffer
      - .actual_access:  write_only
        .address_space:  global
        .offset:         96
        .size:           8
        .value_kind:     global_buffer
    .group_segment_fixed_size: 0
    .kernarg_segment_align: 8
    .kernarg_segment_size: 104
    .language:       OpenCL C
    .language_version:
      - 2
      - 0
    .max_flat_workgroup_size: 56
    .name:           fft_rtc_back_len1176_factors_2_2_2_3_7_7_wgs_56_tpt_56_halfLds_dp_op_CI_CI_unitstride_sbrr_R2C_dirReg
    .private_segment_fixed_size: 0
    .sgpr_count:     30
    .sgpr_spill_count: 0
    .symbol:         fft_rtc_back_len1176_factors_2_2_2_3_7_7_wgs_56_tpt_56_halfLds_dp_op_CI_CI_unitstride_sbrr_R2C_dirReg.kd
    .uniform_work_group_size: 1
    .uses_dynamic_stack: false
    .vgpr_count:     188
    .vgpr_spill_count: 0
    .wavefront_size: 32
    .workgroup_processor_mode: 1
amdhsa.target:   amdgcn-amd-amdhsa--gfx1030
amdhsa.version:
  - 1
  - 2
...

	.end_amdgpu_metadata
